;; amdgpu-corpus repo=ROCm/Tensile kind=harvested arch=n/a opt=n/a

/******************************************/
/* Function Prefix                        */
/******************************************/



/******************************************/
/* Begin Kernel                           */
/******************************************/

// Component.Signature.SignatureDefault
.amdgcn_target "amdgcn-amd-amdhsa--gfx942"
.text
.protected Cijk_Alik_Bjlk_DB_MT128x112x32_MI16x16x4x1_SN_1LDSB1_APM1_AF0EM1_AF1EM1_AMAS3_ASE_ASGT_ASLT0257_ASM_ASAE01_ASCE01_ASEM1_BL1_BS1_CLR0_DTVA0_DTVB0_ETB_EPS1_ELFLR0_EMLL0_FSSC10_FL0_GLVWA2_GLVWB2_GRCGA1_GRPM1_GRVWn1_GSU1_GSUASB_GLS0_IU1_K1_LBSPPA512_LBSPPB0_LPA4_LPB0_LRVW2_LWPMn1_MIAV0_MKFGSU256_NTA0_NTB0_NTC3_NTD3_NEPBS4_NLCA1_NLCB7_ONLL1_PGR2_PLR9_PKA0_SIA3_SLW1_SS1_SU0_SUM0_SUS0_SPO0_SRVW0_SSO0_SVW2_TSGRA0_TSGRB0_TT2_112_TLDS1_UMLDSA1_UMLDSB0_USFGROn1_VAW1_VSn1_VW2_VWB1_VFLRP0_WSGRA0_WSGRB0_WG64_4_1_WGM1
.globl Cijk_Alik_Bjlk_DB_MT128x112x32_MI16x16x4x1_SN_1LDSB1_APM1_AF0EM1_AF1EM1_AMAS3_ASE_ASGT_ASLT0257_ASM_ASAE01_ASCE01_ASEM1_BL1_BS1_CLR0_DTVA0_DTVB0_ETB_EPS1_ELFLR0_EMLL0_FSSC10_FL0_GLVWA2_GLVWB2_GRCGA1_GRPM1_GRVWn1_GSU1_GSUASB_GLS0_IU1_K1_LBSPPA512_LBSPPB0_LPA4_LPB0_LRVW2_LWPMn1_MIAV0_MKFGSU256_NTA0_NTB0_NTC3_NTD3_NEPBS4_NLCA1_NLCB7_ONLL1_PGR2_PLR9_PKA0_SIA3_SLW1_SS1_SU0_SUM0_SUS0_SPO0_SRVW0_SSO0_SVW2_TSGRA0_TSGRB0_TT2_112_TLDS1_UMLDSA1_UMLDSB0_USFGROn1_VAW1_VSn1_VW2_VWB1_VFLRP0_WSGRA0_WSGRB0_WG64_4_1_WGM1
.p2align 8
.type Cijk_Alik_Bjlk_DB_MT128x112x32_MI16x16x4x1_SN_1LDSB1_APM1_AF0EM1_AF1EM1_AMAS3_ASE_ASGT_ASLT0257_ASM_ASAE01_ASCE01_ASEM1_BL1_BS1_CLR0_DTVA0_DTVB0_ETB_EPS1_ELFLR0_EMLL0_FSSC10_FL0_GLVWA2_GLVWB2_GRCGA1_GRPM1_GRVWn1_GSU1_GSUASB_GLS0_IU1_K1_LBSPPA512_LBSPPB0_LPA4_LPB0_LRVW2_LWPMn1_MIAV0_MKFGSU256_NTA0_NTB0_NTC3_NTD3_NEPBS4_NLCA1_NLCB7_ONLL1_PGR2_PLR9_PKA0_SIA3_SLW1_SS1_SU0_SUM0_SUS0_SPO0_SRVW0_SSO0_SVW2_TSGRA0_TSGRB0_TT2_112_TLDS1_UMLDSA1_UMLDSB0_USFGROn1_VAW1_VSn1_VW2_VWB1_VFLRP0_WSGRA0_WSGRB0_WG64_4_1_WGM1,@function
.section .rodata,#alloc
.p2align 6
.amdhsa_kernel Cijk_Alik_Bjlk_DB_MT128x112x32_MI16x16x4x1_SN_1LDSB1_APM1_AF0EM1_AF1EM1_AMAS3_ASE_ASGT_ASLT0257_ASM_ASAE01_ASCE01_ASEM1_BL1_BS1_CLR0_DTVA0_DTVB0_ETB_EPS1_ELFLR0_EMLL0_FSSC10_FL0_GLVWA2_GLVWB2_GRCGA1_GRPM1_GRVWn1_GSU1_GSUASB_GLS0_IU1_K1_LBSPPA512_LBSPPB0_LPA4_LPB0_LRVW2_LWPMn1_MIAV0_MKFGSU256_NTA0_NTB0_NTC3_NTD3_NEPBS4_NLCA1_NLCB7_ONLL1_PGR2_PLR9_PKA0_SIA3_SLW1_SS1_SU0_SUM0_SUS0_SPO0_SRVW0_SSO0_SVW2_TSGRA0_TSGRB0_TT2_112_TLDS1_UMLDSA1_UMLDSB0_USFGROn1_VAW1_VSn1_VW2_VWB1_VFLRP0_WSGRA0_WSGRB0_WG64_4_1_WGM1
  .amdhsa_user_sgpr_kernarg_segment_ptr 1
  .amdhsa_user_sgpr_kernarg_preload_offset 0
  .amdhsa_user_sgpr_kernarg_preload_length 0
  .amdhsa_user_sgpr_count 2
  .amdhsa_accum_offset 256 // accvgpr offset
  .amdhsa_next_free_vgpr 368 // vgprs
  .amdhsa_next_free_sgpr 69 // sgprs
  .amdhsa_group_segment_fixed_size 63488 // lds bytes
  .amdhsa_private_segment_fixed_size 0
  .amdhsa_system_sgpr_workgroup_id_x 1
  .amdhsa_system_sgpr_workgroup_id_y 1
  .amdhsa_system_sgpr_workgroup_id_z 1
  .amdhsa_system_vgpr_workitem_id 0
  .amdhsa_float_denorm_mode_32 3
  .amdhsa_float_denorm_mode_16_64 3
.end_amdhsa_kernel
.text

/******************************************/
/* Optimizations and Config:              */
/******************************************/
/* ThreadTile= 8 x 7 */
/* SubGroup= 16 x 16 */
/* VectorWidthA=2 */
/* VectorWidthB=1 */
/* GlobalLoadVectorWidthA=2, GlobalLoadVectorWidthB=2 */
/* DirectToLdsA=False */
/* DirectToLdsB=False */
/* UseSgprForGRO=1 */
.amdgpu_metadata
---
amdhsa.version:
  - 1
  - 1
amdhsa.target: amdgcn-amd-amdhsa--gfx942
amdhsa.kernels:
  - .name: Cijk_Alik_Bjlk_DB_MT128x112x32_MI16x16x4x1_SN_1LDSB1_APM1_AF0EM1_AF1EM1_AMAS3_ASE_ASGT_ASLT0257_ASM_ASAE01_ASCE01_ASEM1_BL1_BS1_CLR0_DTVA0_DTVB0_ETB_EPS1_ELFLR0_EMLL0_FSSC10_FL0_GLVWA2_GLVWB2_GRCGA1_GRPM1_GRVWn1_GSU1_GSUASB_GLS0_IU1_K1_LBSPPA512_LBSPPB0_LPA4_LPB0_LRVW2_LWPMn1_MIAV0_MKFGSU256_NTA0_NTB0_NTC3_NTD3_NEPBS4_NLCA1_NLCB7_ONLL1_PGR2_PLR9_PKA0_SIA3_SLW1_SS1_SU0_SUM0_SUS0_SPO0_SRVW0_SSO0_SVW2_TSGRA0_TSGRB0_TT2_112_TLDS1_UMLDSA1_UMLDSB0_USFGROn1_VAW1_VSn1_VW2_VWB1_VFLRP0_WSGRA0_WSGRB0_WG64_4_1_WGM1
    .symbol: 'Cijk_Alik_Bjlk_DB_MT128x112x32_MI16x16x4x1_SN_1LDSB1_APM1_AF0EM1_AF1EM1_AMAS3_ASE_ASGT_ASLT0257_ASM_ASAE01_ASCE01_ASEM1_BL1_BS1_CLR0_DTVA0_DTVB0_ETB_EPS1_ELFLR0_EMLL0_FSSC10_FL0_GLVWA2_GLVWB2_GRCGA1_GRPM1_GRVWn1_GSU1_GSUASB_GLS0_IU1_K1_LBSPPA512_LBSPPB0_LPA4_LPB0_LRVW2_LWPMn1_MIAV0_MKFGSU256_NTA0_NTB0_NTC3_NTD3_NEPBS4_NLCA1_NLCB7_ONLL1_PGR2_PLR9_PKA0_SIA3_SLW1_SS1_SU0_SUM0_SUS0_SPO0_SRVW0_SSO0_SVW2_TSGRA0_TSGRB0_TT2_112_TLDS1_UMLDSA1_UMLDSB0_USFGROn1_VAW1_VSn1_VW2_VWB1_VFLRP0_WSGRA0_WSGRB0_WG64_4_1_WGM1.kd'
    .language:                   OpenCL C
    .language_version:
      - 2
      - 0
    .args:
      - .name:            Tensor2dSizeA
        .size:            8
        .offset:          0
        .value_kind:      by_value
        .value_type:      u64
      - .name:            Tensor2dSizeB
        .size:            8
        .offset:          8
        .value_kind:      by_value
        .value_type:      u64
      - .name:            AddressD
        .size:            8
        .offset:          16
        .value_kind:      by_value
        .value_type:      u64
      - .name:            AddressC
        .size:            8
        .offset:          24
        .value_kind:      by_value
        .value_type:      u64
      - .name:            AddressA
        .size:            8
        .offset:          32
        .value_kind:      by_value
        .value_type:      u64
      - .name:            AddressB
        .size:            8
        .offset:          40
        .value_kind:      by_value
        .value_type:      u64
      - .name:            Alpha
        .size:            8
        .offset:          48
        .value_kind:      by_value
        .value_type:      u64
      - .name:            Beta
        .size:            8
        .offset:          56
        .value_kind:      by_value
        .value_type:      u64
      - .name:            StridesD
        .size:            8
        .offset:          64
        .value_kind:      by_value
        .value_type:      u64
      - .name:            StridesC
        .size:            8
        .offset:          72
        .value_kind:      by_value
        .value_type:      u64
      - .name:            StridesA
        .size:            8
        .offset:          80
        .value_kind:      by_value
        .value_type:      u64
      - .name:            StridesB
        .size:            8
        .offset:          88
        .value_kind:      by_value
        .value_type:      u64
      - .name:            SizesFree
        .size:            12
        .offset:          96
        .value_kind:      by_value
        .value_type:      u96
      - .name:            SizesSum
        .size:            4
        .offset:          108
        .value_kind:      by_value
        .value_type:      u32
      - .name:            NumWorkGroups0
        .size:            4
        .offset:          112
        .value_kind:      by_value
        .value_type:      u32
      - .name:            NumWorkGroups1
        .size:            4
        .offset:          116
        .value_kind:      by_value
        .value_type:      u32
    .group_segment_fixed_size:   63488
    .kernarg_segment_align:      8
    .kernarg_segment_size:       120
    .max_flat_workgroup_size:    256
    .private_segment_fixed_size: 0
    .sgpr_count:                 69
    .sgpr_spill_count:           0
    .vgpr_count:                 256
    .vgpr_spill_count:           0
    .wavefront_size:             64
...
.end_amdgpu_metadata
Cijk_Alik_Bjlk_DB_MT128x112x32_MI16x16x4x1_SN_1LDSB1_APM1_AF0EM1_AF1EM1_AMAS3_ASE_ASGT_ASLT0257_ASM_ASAE01_ASCE01_ASEM1_BL1_BS1_CLR0_DTVA0_DTVB0_ETB_EPS1_ELFLR0_EMLL0_FSSC10_FL0_GLVWA2_GLVWB2_GRCGA1_GRPM1_GRVWn1_GSU1_GSUASB_GLS0_IU1_K1_LBSPPA512_LBSPPB0_LPA4_LPB0_LRVW2_LWPMn1_MIAV0_MKFGSU256_NTA0_NTB0_NTC3_NTD3_NEPBS4_NLCA1_NLCB7_ONLL1_PGR2_PLR9_PKA0_SIA3_SLW1_SS1_SU0_SUM0_SUS0_SPO0_SRVW0_SSO0_SVW2_TSGRA0_TSGRB0_TT2_112_TLDS1_UMLDSA1_UMLDSB0_USFGROn1_VAW1_VSn1_VW2_VWB1_VFLRP0_WSGRA0_WSGRB0_WG64_4_1_WGM1:

/******************************************/
/* Asm syntax workarounds                 */
/******************************************/
.macro _v_add_co_u32 dst:req, cc:req, src0:req, src1:req, dpp=
   v_add_co_u32 \dst, \cc, \src0, \src1 \dpp
.endm

.macro _v_add_u32 dst:req, src0:req, src1:req, dpp=
   v_add_u32 \dst, \src0, \src1 \dpp
.endm

.macro _v_add_i32 dst:req, src0:req, src1:req, dpp=
   v_add_i32 \dst, \src0, \src1 \dpp
.endm

.macro _v_addc_co_u32 dst:req, ccOut:req, src0:req, ccIn:req, src1:req, dpp=
   v_addc_co_u32 \dst, \ccOut, \src0, \ccIn, \src1 \dpp
.endm

.macro _v_sub_co_u32 dst:req, cc:req, src0:req, src1:req, dpp=
   v_sub_co_u32 \dst, \cc, \src0, \src1 \dpp
.endm

.macro _v_sub_u32 dst:req, src0:req, src1:req, dpp=
   v_sub_u32 \dst, \src0, \src1 \dpp
.endm

.macro _v_sub_i32 dst:req, src0:req, src1:req, dpp=
   v_sub_i32 \dst, \src0, \src1 \dpp
.endm

.macro _v_add_lshl_u32 dst:req, src0:req, src1:req, shiftCnt:req
    v_add_lshl_u32 \dst, \src0, \src1, \shiftCnt
.endm

.macro _v_lshl_add_u32 dst:req, src0:req, src1:req, shiftCnt:req
    v_lshl_add_u32 \dst, \src0, \src1, \shiftCnt
.endm

.macro _v_lshl_or_b32 dst:req, src0:req, shiftCnt:req, src1:req
    v_lshl_or_b32 \dst, \src0, \shiftCnt, \src1
.endm

.macro _v_dot2acc_f32_f16 dst, src0, src1
v_dot2c_f32_f16 \dst, \src0, \src1
.endm

.macro _v_cmpx_lt_i16 dst, src0, src1=
   v_cmpx_lt_i16 \dst, \src0, \src1 
.endm

.macro _v_cmpx_lt_i32 dst, src0, src1=
   v_cmpx_lt_i32 \dst, \src0, \src1 
.endm

.macro _v_cmpx_lt_i64 dst, src0, src1=
   v_cmpx_lt_i64 \dst, \src0, \src1 
.endm

.macro _v_cmpx_lt_u16 dst, src0, src1=
   v_cmpx_lt_u16 \dst, \src0, \src1 
.endm

.macro _v_cmpx_lt_u32 dst, src0, src1=
   v_cmpx_lt_u32 \dst, \src0, \src1 
.endm

.macro _v_cmpx_lt_u64 dst, src0, src1=
   v_cmpx_lt_u64 \dst, \src0, \src1 
.endm

.macro _v_cmpx_eq_i16 dst, src0, src1=
   v_cmpx_eq_i16 \dst, \src0, \src1 
.endm

.macro _v_cmpx_eq_i32 dst, src0, src1=
   v_cmpx_eq_i32 \dst, \src0, \src1 
.endm

.macro _v_cmpx_eq_i64 dst, src0, src1=
   v_cmpx_eq_i64 \dst, \src0, \src1 
.endm

.macro _v_cmpx_eq_u16 dst, src0, src1=
   v_cmpx_eq_u16 \dst, \src0, \src1 
.endm

.macro _v_cmpx_eq_u32 dst, src0, src1=
   v_cmpx_eq_u32 \dst, \src0, \src1 
.endm

.macro _v_cmpx_eq_u64 dst, src0, src1=
   v_cmpx_eq_u64 \dst, \src0, \src1 
.endm

.macro _v_cmpx_le_i16 dst, src0, src1=
   v_cmpx_le_i16 \dst, \src0, \src1 
.endm

.macro _v_cmpx_le_i32 dst, src0, src1=
   v_cmpx_le_i32 \dst, \src0, \src1 
.endm

.macro _v_cmpx_le_i64 dst, src0, src1=
   v_cmpx_le_i64 \dst, \src0, \src1 
.endm

.macro _v_cmpx_le_u16 dst, src0, src1=
   v_cmpx_le_u16 \dst, \src0, \src1 
.endm

.macro _v_cmpx_le_u32 dst, src0, src1=
   v_cmpx_le_u32 \dst, \src0, \src1 
.endm

.macro _v_cmpx_le_u64 dst, src0, src1=
   v_cmpx_le_u64 \dst, \src0, \src1 
.endm

.macro _v_cmpx_gt_i16 dst, src0, src1=
   v_cmpx_gt_i16 \dst, \src0, \src1 
.endm

.macro _v_cmpx_gt_i32 dst, src0, src1=
   v_cmpx_gt_i32 \dst, \src0, \src1 
.endm

.macro _v_cmpx_gt_i64 dst, src0, src1=
   v_cmpx_gt_i64 \dst, \src0, \src1 
.endm

.macro _v_cmpx_gt_u16 dst, src0, src1=
   v_cmpx_gt_u16 \dst, \src0, \src1 
.endm

.macro _v_cmpx_gt_u32 dst, src0, src1=
   v_cmpx_gt_u32 \dst, \src0, \src1 
.endm

.macro _v_cmpx_gt_u64 dst, src0, src1=
   v_cmpx_gt_u64 \dst, \src0, \src1 
.endm

.macro _v_cmpx_ne_i16 dst, src0, src1=
   v_cmpx_ne_i16 \dst, \src0, \src1 
.endm

.macro _v_cmpx_ne_i32 dst, src0, src1=
   v_cmpx_ne_i32 \dst, \src0, \src1 
.endm

.macro _v_cmpx_ne_i64 dst, src0, src1=
   v_cmpx_ne_i64 \dst, \src0, \src1 
.endm

.macro _v_cmpx_ne_u16 dst, src0, src1=
   v_cmpx_ne_u16 \dst, \src0, \src1 
.endm

.macro _v_cmpx_ne_u32 dst, src0, src1=
   v_cmpx_ne_u32 \dst, \src0, \src1 
.endm

.macro _v_cmpx_ne_u64 dst, src0, src1=
   v_cmpx_ne_u64 \dst, \src0, \src1 
.endm

.macro _v_cmpx_lg_i16 dst, src0, src1=
   v_cmpx_lg_i16 \dst, \src0, \src1 
.endm

.macro _v_cmpx_lg_i32 dst, src0, src1=
   v_cmpx_lg_i32 \dst, \src0, \src1 
.endm

.macro _v_cmpx_lg_i64 dst, src0, src1=
   v_cmpx_lg_i64 \dst, \src0, \src1 
.endm

.macro _v_cmpx_lg_u16 dst, src0, src1=
   v_cmpx_lg_u16 \dst, \src0, \src1 
.endm

.macro _v_cmpx_lg_u32 dst, src0, src1=
   v_cmpx_lg_u32 \dst, \src0, \src1 
.endm

.macro _v_cmpx_lg_u64 dst, src0, src1=
   v_cmpx_lg_u64 \dst, \src0, \src1 
.endm

.macro _v_cmpx_ge_i16 dst, src0, src1=
   v_cmpx_ge_i16 \dst, \src0, \src1 
.endm

.macro _v_cmpx_ge_i32 dst, src0, src1=
   v_cmpx_ge_i32 \dst, \src0, \src1 
.endm

.macro _v_cmpx_ge_i64 dst, src0, src1=
   v_cmpx_ge_i64 \dst, \src0, \src1 
.endm

.macro _v_cmpx_ge_u16 dst, src0, src1=
   v_cmpx_ge_u16 \dst, \src0, \src1 
.endm

.macro _v_cmpx_ge_u32 dst, src0, src1=
   v_cmpx_ge_u32 \dst, \src0, \src1 
.endm

.macro _v_cmpx_ge_u64 dst, src0, src1=
   v_cmpx_ge_u64 \dst, \src0, \src1 
.endm

.macro _v_cmpx_o_i16 dst, src0, src1=
   v_cmpx_o_i16 \dst, \src0, \src1 
.endm

.macro _v_cmpx_o_i32 dst, src0, src1=
   v_cmpx_o_i32 \dst, \src0, \src1 
.endm

.macro _v_cmpx_o_i64 dst, src0, src1=
   v_cmpx_o_i64 \dst, \src0, \src1 
.endm

.macro _v_cmpx_o_u16 dst, src0, src1=
   v_cmpx_o_u16 \dst, \src0, \src1 
.endm

.macro _v_cmpx_o_u32 dst, src0, src1=
   v_cmpx_o_u32 \dst, \src0, \src1 
.endm

.macro _v_cmpx_o_u64 dst, src0, src1=
   v_cmpx_o_u64 \dst, \src0, \src1 
.endm

.macro _v_cmpx_u_i16 dst, src0, src1=
   v_cmpx_u_i16 \dst, \src0, \src1 
.endm

.macro _v_cmpx_u_i32 dst, src0, src1=
   v_cmpx_u_i32 \dst, \src0, \src1 
.endm

.macro _v_cmpx_u_i64 dst, src0, src1=
   v_cmpx_u_i64 \dst, \src0, \src1 
.endm

.macro _v_cmpx_u_u16 dst, src0, src1=
   v_cmpx_u_u16 \dst, \src0, \src1 
.endm

.macro _v_cmpx_u_u32 dst, src0, src1=
   v_cmpx_u_u32 \dst, \src0, \src1 
.endm

.macro _v_cmpx_u_u64 dst, src0, src1=
   v_cmpx_u_u64 \dst, \src0, \src1 
.endm
.macro _v_mac_f32 c:req, a:req, b:req
    v_fmac_f32 \c, \a, \b
.endmacro

/* scale global load macros */
.macro _s_load_b32 dst base offset
    s_load_dword \dst \base \offset
.endm

.macro _s_load_b64 dst base offset
    s_load_dwordx2 \dst \base \offset
.endm

.macro _s_load_b128 dst base offset
    s_load_dwordx4 \dst \base \offset
.endm

.macro _s_load_b256 dst base offset
    s_load_dwordx8 \dst \base \offset
.endm

.macro _s_load_b512 dst base offset
    s_load_dwordx16 \dst \base \offset
.endm


/* ds operation macros */
.macro _ds_load_u8 dst src offset
    ds_read_u8 \dst \src \offset
.endm

.macro _ds_load_u8_d16_hi dst src offset
    ds_read_u8_d16_hi \dst \src \offset
.endm

.macro _ds_load_u16 dst src offset
    ds_read_u16 \dst \src \offset
.endm

.macro _ds_load_u16_d16_hi dst src offset
    ds_read_u16_d16_hi \dst \src \offset
.endm

.macro _ds_load_b32 dst src offset
    ds_read_b32 \dst \src \offset
.endm

.macro _ds_load_b64 dst src offset
    ds_read_b64 \dst \src \offset
.endm

.macro _ds_load_b128 dst src offset
    ds_read_b128 \dst \src \offset
.endm

.macro _ds_store_b8 dst src offset
    ds_write_b8 \dst \src \offset
.endm

.macro _ds_store_b8_d16_hi dst src offset
    ds_write_b8_d16_hi \dst \src \offset
.endm

.macro _ds_store_b16 dst src offset
    ds_write_b16 \dst \src \offset
.endm

.macro _ds_store_b16_d16_hi dst src offset
    ds_write_b16_d16_hi \dst \src \offset
.endm

.macro _ds_store_b32 dst src offset
    ds_write_b32 \dst \src \offset
.endm

.macro _ds_store_b64 dst src offset
    ds_write_b64 \dst \src \offset
.endm

.macro _ds_store_b128 dst src offset
    ds_write_b128 \dst \src \offset
.endm

.macro _ds_load2_b32 dst src offset1 offset2
    ds_read2_b32 \dst \src \offset1 \offset2
.endm

.macro _ds_load2_b64 dst src offset1 offset2
    ds_read2_b64 \dst \src \offset1 \offset2
.endm

.macro _ds_store2_b32 dst src offset1 offset2
    ds_write2_b32 \dst \src \offset1 \offset2
.endm

.macro _ds_store2_b64 dst src offset1 offset2
    ds_write2_b64 \dst \src \offset1 \offset2
.endm


/* buffer memory operation macros */
.macro _buffer_load_b32 dst voffset base soffset offen ioffset md0 md1 md2
    buffer_load_dword \dst \voffset \base \soffset \offen \ioffset \md0 \md1 \md2
.endm

.macro _buffer_load_b64 dst voffset base soffset offen ioffset md0 md1 md2
    buffer_load_dwordx2 \dst \voffset \base \soffset \offen \ioffset \md0 \md1 \md2
.endm

.macro _buffer_load_b96 dst voffset base soffset offen ioffset md0 md1 md2
    buffer_load_dwordx3 \dst \voffset \base \soffset \offen \ioffset \md0 \md1 \md2
.endm

.macro _buffer_load_b128 dst voffset base soffset offen ioffset md0 md1 md2
    buffer_load_dwordx4 \dst \voffset \base \soffset \offen \ioffset \md0 \md1 \md2
.endm

.macro _buffer_load_d16_b16 dst voffset base soffset offen ioffset md0 md1 md2
    buffer_load_short_d16 \dst \voffset \base \soffset \offen \ioffset \md0 \md1 \md2
.endm

.macro _buffer_load_d16_hi_b16 dst voffset base soffset offen ioffset md0 md1 md2
    buffer_load_short_d16_hi \dst \voffset \base \soffset \offen \ioffset \md0 \md1 \md2
.endm

.macro _buffer_load_d16_u8 dst voffset base soffset offen ioffset md0 md1 md2
    buffer_load_ubyte_d16 \dst \voffset \base \soffset \offen \ioffset \md0 \md1 \md2
.endm

.macro _buffer_load_d16_hi_u8 dst voffset base soffset offen ioffset md0 md1 md2
    buffer_load_ubyte_d16_hi \dst \voffset \base \soffset \offen \ioffset \md0 \md1 \md2
.endm

.macro _buffer_load_u16 dst voffset base soffset offen ioffset md0 md1 md2
    buffer_load_ushort \dst \voffset \base \soffset \offen \ioffset \md0 \md1 \md2
.endm

.macro _buffer_load_b32_dtl voffset base soffset offen ioffset md0 md1 md2
    buffer_load_dword \voffset \base \soffset \offen \ioffset \md0 \md1 \md2
.endm

.macro _buffer_load_b64_dtl voffset base soffset offen ioffset md0 md1 md2
    buffer_load_dwordx2 \voffset \base \soffset \offen \ioffset \md0 \md1 \md2
.endm

.macro _buffer_load_b128_dtl voffset base soffset offen ioffset md0 md1 md2
    buffer_load_dwordx4 \voffset \base \soffset \offen \ioffset \md0 \md1 \md2
.endm

.macro _buffer_load_u16_dtl voffset base soffset offen ioffset md0 md1 md2
    buffer_load_ushort \voffset \base \soffset \offen \ioffset \md0 \md1 \md2
.endm

.macro _buffer_store_b32 src voffset base soffset offen ioffset md0 md1 md2
    buffer_store_dword \src \voffset \base \soffset \offen \ioffset \md0 \md1 \md2
.endm

.macro _buffer_store_b64 src voffset base soffset offen ioffset md0 md1 md2
    buffer_store_dwordx2 \src \voffset \base \soffset \offen \ioffset \md0 \md1 \md2
.endm

.macro _buffer_store_b96 src voffset base soffset offen ioffset md0 md1 md2
    buffer_store_dwordx3 \src \voffset \base \soffset \offen \ioffset \md0 \md1 \md2
.endm

.macro _buffer_store_b128 src voffset base soffset offen ioffset md0 md1 md2
    buffer_store_dwordx4 \src \voffset \base \soffset \offen \ioffset \md0 \md1 \md2
.endm

.macro _buffer_store_b16 src voffset base soffset offen ioffset md0 md1 md2
    buffer_store_short \src \voffset \base \soffset \offen \ioffset \md0 \md1 \md2
.endm

.macro _buffer_store_d16_hi_b16 src voffset base soffset offen ioffset md0 md1 md2
    buffer_store_short_d16_hi \src \voffset \base \soffset \offen \ioffset \md0 \md1 \md2
.endm

.macro _buffer_store_b8 src voffset base soffset offen ioffset md0 md1 md2
    buffer_store_byte \src \voffset \base \soffset \offen \ioffset \md0 \md1 \md2
.endm

.macro _buffer_store_d16_hi_b8 src voffset base soffset offen ioffset md0 md1 md2
    buffer_store_byte_d16_hi \src \voffset \base \soffset \offen \ioffset \md0 \md1 \md2
.endm

.macro _buffer_atomic_cmpswap_b32 dst voffset base soffset offen ioffset md0 md1 md2
    buffer_atomic_cmpswap \dst \voffset \base \soffset \offen \ioffset \md0 \md1 \md2
.endm

.macro _buffer_atomic_cmpswap_b64 dst voffset base soffset offen ioffset md0 md1 md2
    buffer_atomic_cmpswap_x2 \dst \voffset \base \soffset \offen \ioffset \md0 \md1 \md2
.endm


/* buffer memory operation macros */
.macro _global_load_b32 dst base src ioffset md0 md1 md2
    global_load_dword \dst \base \src \ioffset \md0 \md1 \md2
.endm

.macro _global_load_b64 dst base src ioffset md0 md1 md2
    global_load_dwordx2 \dst \base \src \ioffset \md0 \md1 \md2
.endm

.macro _global_load_b96 dst base src ioffset md0 md1 md2
    global_load_dwordx3 \dst \base \src \ioffset \md0 \md1 \md2
.endm

.macro _global_load_b128 dst base src ioffset md0 md1 md2
    global_load_dwordx4 \dst \base \src \ioffset \md0 \md1 \md2
.endm

.macro _global_load_d16_b16 dst base src ioffset md0 md1 md2
    global_load_short_d16 \dst \base \src \ioffset \md0 \md1 \md2
.endm

.macro _global_load_d16_hi_b16 dst base src ioffset md0 md1 md2
    global_load_short_d16_hi \dst \base \src \ioffset \md0 \md1 \md2
.endm

.macro _global_load_d16_u8 dst base src ioffset md0 md1 md2
    global_load_ubyte_d16 \dst \base \src \ioffset \md0 \md1 \md2
.endm

.macro _global_load_d16_hi_u8 dst base src ioffset md0 md1 md2
    global_load_ubyte_d16_hi \dst \base \src \ioffset \md0 \md1 \md2
.endm

.macro _global_load_u16 dst base src ioffset md0 md1 md2
    global_load_ushort \dst \base \src \ioffset \md0 \md1 \md2
.endm

.macro _global_store_b32 base src src2 md0 md1 md2
    global_store_dword \base \src \src2 \md0 \md1 \md2
.endm

.macro _global_store_b64 base src src2 md0 md1 md2
    global_store_dwordx2 \base \src \src2 \md0 \md1 \md2
.endm

.macro _global_store_b96 base src src2 md0 md1 md2
    global_store_dwordx3 \base \src \src2 \md0 \md1 \md2
.endm

.macro _global_store_b128 base src src2 md0 md1 md2
    global_store_dwordx4 \base \src \src2 \md0 \md1 \md2
.endm

.macro _global_store_d16_b16 base src src2 md0 md1 md2
    global_store_short \base \src \src2 \md0 \md1 \md2
.endm

.macro _global_store_d16_hi_b16 base src src2 md0 md1 md2
    global_store_short_d16_hi \base \src \src2 \md0 \md1 \md2
.endm

.macro _global_store_d16_u8 base src src2 md0 md1 md2
    global_store_ubyte_d16 \base \src \src2 \md0 \md1 \md2
.endm

.macro _global_store_d16_hi_u8 base src src2 md0 md1 md2
    global_store_ubyte_d16_hi \base \src \src2 \md0 \md1 \md2
.endm

.macro _global_store_u16 base src src2 md0 md1 md2
    global_store_ushort \base \src \src2 \md0 \md1 \md2
.endm

.macro _global_atomic_cmpswap_b32 tmp base data src ioffset md
    global_atomic_cmpswap \tmp \base \data \src \ioffset \md
.endm

.macro _global_atomic_cmpswap_b64 tmp base data src ioffset md
    global_atomic_cmpswap_x2 \tmp \base \data \src \ioffset \md
.endm


/******************************************/
/* Magic div and mod functions            */
/******************************************/
.macro V_MAGIC_DIV dstIdx:req, dividend:req, magicNumber:req, magicShift:req, magicA:req
    v_mul_hi_u32 v[\dstIdx+1], \dividend, \magicNumber
    v_mul_lo_u32 v[\dstIdx+0], \dividend, \magicA
    _v_add_u32 v[\dstIdx+0], v[\dstIdx+0], v[\dstIdx+1]
    v_lshrrev_b32 v[\dstIdx+0], \magicShift, v[\dstIdx+0]
.endm

/******************************************/
/* VGPR Assignments                       */
/******************************************/
/* ValuC range: [0-0), serializedStore enabled */
.set vgprValuC, 0
/* ValuA/B   Xn=PLR buffer idx,  In=InnerUnroll idx */
.set vgprValuA_X0_I0, 0
.set vgprValuA_X1_I0, 4
.set vgprValuA_X2_I0, 8
.set vgprValuA_X3_I0, 12
.set vgprValuA_X4_I0, 16
.set vgprValuA_X5_I0, 20
.set vgprValuA_X6_I0, 24
.set vgprValuA_X7_I0, 28
.set vgprG2LA, 148
.set vgprValuB_X0_I0, 32
.set vgprValuB_X1_I0, 46
.set vgprValuB_X2_I0, 60
.set vgprValuB_X3_I0, 74
.set vgprValuB_X4_I0, 88
.set vgprValuB_X5_I0, 102
.set vgprValuB_X6_I0, 116
.set vgprValuB_X7_I0, 130
.set vgprG2LB, 180
.set vgprLocalWriteAddrA, 144
.set vgprLocalWriteAddrB, 145
.set vgprGlobalReadOffsetA, 146
.set vgprGlobalReadOffsetB, 147
.set vgprLocalReadAddrA, 208
.set vgprLocalReadAddrB, 209
.set vgprSerial, 210
/* Num VGPR=256 */
/* Num AccVGPR=112 */

/******************************************/
/* SGPR Assignments                       */
/******************************************/
.set sgprKernArgAddress, 0 // (2)
.set sgprWorkGroup0, 2 // (1)
.set sgprWorkGroup1, 3 // (1)
.set sgprWorkGroup2, 4 // (1)
.set sgprLoopCounterL, 5 // (1)
.set sgprOrigLoopCounter, 6 // (1)
.set sgprSrdA, 8 // (4)
.set sgprSrdB, 12 // (4)
.set sgprSrdD, 16 // (4)
.set sgprSrdC, 20 // (4)
.set sgprTensor2dSizeA, 24 // (2)
.set sgprTensor2dSizeB, 26 // (2)
.set sgprAddressD, 28 // (2)
.set sgprAddressC, 30 // (2)
.set sgprAddressA, 32 // (2)
.set sgprAddressB, 34 // (2)
.set sgprAlpha, 36 // (2)
.set sgprBeta, 38 // (2)
.set sgprStridesD, 40 // (2)
.set sgprStridesC, 42 // (2)
.set sgprStridesA, 44 // (2)
.set sgprStridesB, 46 // (2)
.set sgprSizesFree, 48 // (3)
.set sgprSizesSum, 51 // (1)
.set sgprNumWorkGroups0, 52 // (1)
.set sgprNumWorkGroups1, 53 // (1)
.set sgprShadowLimitA, 0 // (2)
.set sgprShadowLimitB, 28 // (2)
.set sgprGlobalReadIncsA, 7 // (1)
.set sgprGlobalReadIncsB, 30 // (1)
.set sgprScalarGlobalReadOffsetA, 56 // (7)
.set sgprScalarGlobalReadOffsetB, 63 // (6)
/* max SGPR=69 */

/* Size Assignments */
.set sgprSizeI, sgprSizesFree+0
.set sgprSizeJ, sgprSizesFree+1
.set sgprSizeK, sgprSizesFree+2
.set sgprSizeL, sgprSizesSum+0

/* Stride Assignments */
.set constStrideD0I, 1
.set sgprStrideD1J, sgprStridesD+0
.set sgprStrideDK, sgprStridesD+1
.set constStrideC0I, 1
.set sgprStrideC1J, sgprStridesC+0
.set sgprStrideCK, sgprStridesC+1
.set constStrideAL, 1
.set sgprStrideA0I, sgprStridesA+0
.set sgprStrideAK, sgprStridesA+1
.set constStrideB1J, 1
.set sgprStrideBL, sgprStridesB+0
.set sgprStrideBK, sgprStridesB+1

.set MT0, 128
.set MT1, 112
.set DepthU, 32
.set GSU, 1
.set BpeA, 8
.set BpeALog2, 3
.set BpeB, 8
.set BpeBLog2, 3
/* Number of elements to shift-left SRD */
.set SrdShiftLeftA, 2
.set SrdShiftLeftB, 2
/* 2GB limit - set offsets to -1 to exceed this and clamp */
.set BufferLimitA, 0xffffffff
.set BufferLimitB, 0xffffffff
.set BufferOOB, 0xfffff000

/******************************************/
/* Bits 127:96 of SRD.                    */
/* hex: 0x00020000                        */
/* dst_sel_x (3b): 0                      */
/* dst_sel_y (3b): 0                      */
/* dst_sel_z (3b): 0                      */
/* dst_sel_w (3b): 0                      */
/* num_format (3b): 0                     */
/* data_format (4b): 4                    */
/* user_vm_enable (1b): 0                 */
/* user_vm_mode (1b): 0                   */
/* index_stride (2b): 0                   */
/* add_tid_enable (1b): 0                 */
/* _unusedA (3b): 0                       */
/* nv (1b): 0                             */
/* _unusedB (2b): 0                       */
/* type (2b): 0                           */
/******************************************/
.set Srd127_96, 0x00020000

/* Global Offset A */
.macro GLOBAL_OFFSET_A vgprAddr:req vgprOffsetL:req vgprOffset0I:req vgprTmp:req
v_mul_lo_u32 v[\vgprTmp+0], s[sgprStrideA0I], v[\vgprOffset0I] // mul d1 lower
_v_add_co_u32 v[\vgprAddr+0], vcc, v[\vgprOffsetL], v[\vgprTmp+0] // accumulate K lower
_v_add_u32 v[\vgprAddr+0], 0x2, v[\vgprAddr+0]     // add prepad for pointer shift
v_lshlrev_b32 v[\vgprAddr+0], 0x3, v[\vgprAddr+0]  // offset *= bytes/element
.endm

/* Global Offset B */
.macro GLOBAL_OFFSET_B vgprAddr:req vgprOffset1J:req vgprOffsetL:req vgprTmp:req
v_mul_lo_u32 v[\vgprTmp+0], s[sgprStrideBL], v[\vgprOffsetL] // mul d1 lower
_v_add_co_u32 v[\vgprAddr+0], vcc, v[\vgprOffset1J], v[\vgprTmp+0] // accumulate K lower
_v_add_u32 v[\vgprAddr+0], 0x2, v[\vgprAddr+0]     // add prepad for pointer shift
v_lshlrev_b32 v[\vgprAddr+0], 0x3, v[\vgprAddr+0]  // offset *= bytes/element
.endm

/******************************************/
/* Dynamic Scalar Divide: vQuotient=vDividend/vDivisor; vRemainder=vDividend%vDivisor; */
/******************************************/
.macro DYNAMIC_VECTOR_DIVIDE vQuotient vRemainder vDividend vDivisor vTmp0 vTmp1 sTmp
v_cvt_f32_u32 v[\vQuotient], v[\vDivisor]          // 
v_rcp_f32 v[\vQuotient], v[\vQuotient]             // 
v_mul_f32 v[\vQuotient], 0x4f800000, v[\vQuotient] // 
v_cvt_u32_f32 v[\vQuotient], v[\vQuotient]         // 
v_mul_lo_u32 v[\vRemainder], v[\vDivisor], v[\vQuotient] // 
v_mul_hi_u32 v[\vTmp0], v[\vDivisor], v[\vQuotient] // 
_v_sub_co_u32 v[\vTmp1], vcc, 0x0, v[\vRemainder]  // 
v_cmp_ne_i32 s[\sTmp:\sTmp+1], 0x0, v[\vTmp0]      // 
v_cndmask_b32 v[\vRemainder], v[\vTmp1], v[\vRemainder], s[\sTmp:\sTmp+1] // 
v_mul_hi_u32 v[\vRemainder], v[\vRemainder], v[\vQuotient] // 
_v_sub_co_u32 v[\vTmp0], vcc, v[\vQuotient], v[\vRemainder] // 
_v_add_co_u32 v[\vQuotient], vcc, v[\vQuotient], v[\vRemainder] // 
v_cndmask_b32 v[\vQuotient], v[\vQuotient], v[\vTmp0], s[\sTmp:\sTmp+1] // 
v_mul_hi_u32 v[\vQuotient], v[\vQuotient], v[\vDividend] // 
v_mul_lo_u32 v[\vRemainder], v[\vQuotient], v[\vDivisor] // 
_v_sub_co_u32 v[\vTmp0], vcc, v[\vDividend], v[\vRemainder] // 
v_cmp_ge_u32 s[\sTmp:\sTmp+1], v[\vDividend], v[\vRemainder] // 
_v_add_co_u32 v[\vRemainder], vcc, 0x1, v[\vQuotient] // 
_v_add_co_u32 v[\vTmp1], vcc, -1, v[\vQuotient]    // 
v_cmp_le_u32 vcc, v[\vDivisor], v[\vTmp0]          // 
s_and_b64 vcc, s[\sTmp:\sTmp+1], vcc               // 
v_cndmask_b32 v[\vQuotient], v[\vQuotient], v[\vRemainder], vcc // 
v_cndmask_b32 v[\vQuotient], v[\vTmp1], v[\vQuotient], s[\sTmp:\sTmp+1] // 
v_cmp_ne_i32 vcc, 0x0, v[\vDivisor]                // 
v_cndmask_b32 v[\vQuotient], -1, v[\vQuotient], vcc // final result
v_mul_lo_u32 v[\vRemainder], v[\vQuotient], v[\vDivisor] // 
_v_sub_co_u32 v[\vRemainder], vcc, v[\vDividend], v[\vRemainder] // final result
.endm


	;; [unrolled: 1-line block ×3, first 2 shown]
/******************************************/
/* Allocate Resources                     */
/******************************************/

Cijk_Alik_Bjlk_DB_MT128x112x32_MI16x16x4x1_SN_1LDSB1_APM1_AF0EM1_AF1EM1_AMAS3_ASE_ASGT_ASLT0257_ASM_ASAE01_ASCE01_ASEM1_BL1_BS1_CLR0_DTVA0_DTVB0_ETB_EPS1_ELFLR0_EMLL0_FSSC10_FL0_GLVWA2_GLVWB2_GRCGA1_GRPM1_GRVWn1_GSU1_GSUASB_GLS0_IU1_K1_LBSPPA512_LBSPPB0_LPA4_LPB0_LRVW2_LWPMn1_MIAV0_MKFGSU256_NTA0_NTB0_NTC3_NTD3_NEPBS4_NLCA1_NLCB7_ONLL1_PGR2_PLR9_PKA0_SIA3_SLW1_SS1_SU0_SUM0_SUS0_SPO0_SRVW0_SSO0_SVW2_TSGRA0_TSGRB0_TT2_112_TLDS1_UMLDSA1_UMLDSB0_USFGROn1_VAW1_VSn1_VW2_VWB1_VFLRP0_WSGRA0_WSGRB0_WG64_4_1_WGM1_preloaded: // Kernel start when preloading

/* Load Kernel Args */
_s_load_b512 s[24:39], s[sgprKernArgAddress:sgprKernArgAddress+1], 0x0 // 
_s_load_b256 s[40:47], s[sgprKernArgAddress:sgprKernArgAddress+1], 0x40 // 
_s_load_b128 s[48:51], s[sgprKernArgAddress:sgprKernArgAddress+1], 0x60 // 
_s_load_b64 s[52:53], s[sgprKernArgAddress:sgprKernArgAddress+1], 0x70 // 
s_mov_b32 m0, 0xf800                               // LDS clamp at 63488 bytes
v_mov_b32 v[vgprSerial], v0                        // thread serial id

/******************************************/
/* Local Read Addresses                   */
/******************************************/


/* local read addresses: tile assignments a/b */

/*lr0I*/
v_and_b32 v1, 63, v[vgprSerial]                    // 0. thread id in wave: wtid = tid % wavelength(64)
v_and_b32 v0, 15, v1                               // 1. N offset: nIdx = wtid % MI_N(16)
v_lshlrev_b32 v0, 0x5, v0                          // 1. N offset: nOffset = nIdx * nStride(32)
                                                   // 2. block offset: bnIdx = bnIdx % num1DBlocks(1) is 0. do nothing
v_lshlrev_b32 v0, 0x1, v0                          // 4. apply VectorWidth: bnOffset = bnOffset * vw(2)
v_lshrrev_b32 v1, 4, v1                            // 5. K offset: kIdx = wtid / (MIN(16) * MIBB(1))
v_lshlrev_b32 v1, 0x1, v1                          // 5. K offset: lrKOffset = kIdx * mStride(2)
_v_add_u32 v0, v1, v0                              // 6. offset in wave: lrOffset = bnOffset + lrKOffset
v_lshrrev_b32 v2, 6, v[vgprSerial]                 // 7. wave offset in N dimen: wtid = tid / dividedForWaveId(64)
v_and_b32 v1, 3, v2                                // 7. wave offset in M dimen: wtid0 = wtid / num1DWaves(4)
v_lshlrev_b32 v1, 0xa, v1                          // 7. wave offset in M dimen: wOffset = wtid0 * W0Stride(1024)
_v_add_u32 v0, v1, v0                              // 8. final local read offset: flrOffset = lrOffset + WOffset
/*lr1J*/
v_and_b32 v2, 63, v[vgprSerial]                    // 0. thread id in wave: wtid = tid % wavelength(64)
v_and_b32 v1, 15, v2                               // 1. N offset: nIdx = wtid % MI_N(16)
                                                   // 1. N offset: nOffset = nIdx * nStride(1) (multiplier is 1, do nothing)
                                                   // 2. block offset: bnIdx = bnIdx % num1DBlocks(1) is 0. do nothing
                                                   // 4. apply VectorWidth: bnOffset = bnOffset * vw(1) (multiplier is 1, do nothing)
v_lshrrev_b32 v2, 4, v2                            // 5. K offset: kIdx = wtid / (MIN(16) * MIBB(1))
s_mov_b32 s7, 0xe0                                 // 5. K offset: lrKOffset = kIdx * mStride(224)
v_mul_lo_u32 v2, s7, v2                            // 5. K offset: lrKOffset = kIdx * mStride(224)
_v_add_u32 v1, v2, v1                              // 6. offset in wave: lrOffset = bnOffset + lrKOffset


/* local read addresses: final offsets a */

v_lshlrev_b32 v[vgprLocalReadAddrA], 0x3, v0       // Final Offset: offset = (lro0)*bpe
v_lshrrev_b32 v0, 9, v[vgprLocalReadAddrA]         // Final Offset: padding 4 per block 512
v_lshlrev_b32 v0, 0x5, v0                          // Final Offset: padding 4 per block 512
_v_add_u32 v[vgprLocalReadAddrA], v0, v[vgprLocalReadAddrA] // Final Offset: add padding 4 per block 512


/* local read addresses: final offsets b */

v_lshlrev_b32 v[vgprLocalReadAddrB], 0x3, v1       // Final Offset: offset = (lro1)*bpe


/* local read addresses: declare addresses a */

/* N/A */


/* local read addresses: declare addresses b */

_v_add_co_u32 v[vgprLocalReadAddrB+0], vcc, 0x8800, v[vgprLocalReadAddrB+0] //  += LdsOffsetB (lower)


/* global read addresses: tile offset assignment a */

/* LVCA = 16 */
/* v0 = (local)groA-tile = serial/LVCA (note (wgA*MTA) will be added to SRD) */
/* v1 = groA-unroll = serial%LVCA */
v_lshrrev_b32 v0, 4, v[vgprSerial]                 // v0 = v[vgprSerial] / 16
v_and_b32 v1, 15, v[vgprSerial]                    // v1 = v[vgprSerial] % 16
/* gro-unroll *= glvw */
v_lshlrev_b32 v1, 0x1, v1                          // v1 = v1 * 2


/* global read addresses: tile offset assignment b */

/* LVCB = 8 */
/* v2 = (local)groB-tile = serial%LVCB (note (wgB*MTB) will be added to SRD) */
/* v3 = groB-unroll = serial/LVCB */
v_lshrrev_b32 v3, 3, v[vgprSerial]                 // v3 = v[vgprSerial] / 8
v_and_b32 v2, 7, v[vgprSerial]                     // v2 = v[vgprSerial] % 8
/* gro-tile *= glvw */
v_lshlrev_b32 v2, 0x1, v2                          // v2 = v2 * 2


/******************************************/
/* Local Write Addresses                  */
/******************************************/

/* lwaTileAssignmentA = v0 */

/* lwaTileAssignmentB = v2 */

/* lwaUnrollAssignmentA = v1 */

/* lwaUnrollAssignmentB = v3 */


/* local write addresses: first offset a */

v_mul_u32_u24 v[vgprLocalWriteAddrA], 0x20, v0     // lwAL**(DepthU_Compute + PAD)
_v_add_lshl_u32 v[vgprLocalWriteAddrA], v1, v[vgprLocalWriteAddrA], 0x3 // lwFOA = (lwAA + lwAL*(DepthU+PAD))*bpe
v_lshrrev_b32 v4, 9, v[vgprLocalWriteAddrA]        // padding 4 per block 512
v_lshlrev_b32 v4, 0x5, v4                          // padding 4 per block 512
_v_add_u32 v[vgprLocalWriteAddrA], v4, v[vgprLocalWriteAddrA] // add padding 4 per block 512


/* local write addresses: first offset b */

v_mul_u32_u24 v[vgprLocalWriteAddrB], 0x70, v3     // lwBL**(MTB + PAD)
_v_add_lshl_u32 v[vgprLocalWriteAddrB], v2, v[vgprLocalWriteAddrB], 0x3 // lwFOB = (lwBB + lwBL*(MT1J+PAD))*bpe
_v_add_co_u32 v[vgprLocalWriteAddrB], vcc, 0x8800, v[vgprLocalWriteAddrB] // lwFOB = lwB1J + lwBL*MT1J + LDS_OFFSET_B=4352*8


	;; [unrolled: 1-line block ×7, first 2 shown]
s_waitcnt lgkmcnt(0)                               // wait for 120 bytes of kern args
s_mov_b64 s[sgprSrdC+0:sgprSrdC+0+1], s[sgprAddressC+0:sgprAddressC+0+1] // copy addressC
s_mov_b64 s[sgprSrdD+0:sgprSrdD+0+1], s[sgprAddressD+0:sgprAddressD+0+1] // copy addressD
s_sub_u32 s[sgprSrdA+0], s[sgprAddressA+0], 16     // pre-pad to make room for possible pointer shift
s_subb_u32 s[sgprSrdA+1], s[sgprAddressA+1], 0     // pre-pad to make room for possible pointer shift
s_sub_u32 s[sgprSrdB+0], s[sgprAddressB+0], 16     // pre-pad to make room for possible pointer shift
s_subb_u32 s[sgprSrdB+1], s[sgprAddressB+1], 0     // pre-pad to make room for possible pointer shift

.set AddressD, UNDEF
.set AddressC, UNDEF
.set AddressA, UNDEF
.set AddressB, UNDEF

/* Short circuit condition if Alpha == 0, then sumDims=0 */
v_cmp_eq_f64 vcc, s[sgprAlpha:sgprAlpha+1], 0.0    // Alpha == 0.0 ?
s_cbranch_vccz label_AlphaNonZero                  // branch if Alpha != 0
s_mov_b32 s[sgprSizesSum+0], 0x0                   // Set summation dim=0 if Alpha == 0
label_AlphaNonZero:


	;; [unrolled: 1-line block ×3, first 2 shown]
/******************************************/
/* Begin setupNewTile, isPap=False           */
/******************************************/


/* global read addresses: work-group */

/* graWorkGroup mapping */


/* global read addresses: unroll assignment a */

/* v1 */


/* global read addresses: unroll assignment b */

/* v3 */


/* global read addresses: other free assignments */

/* s[sgprWorkGroup2] */


/* global read addresses: tile offsets a */



/* global read addresses: tile offsets b */


	;; [unrolled: 1-line block ×3, first 2 shown]
/* global read addresses: unroll offsets a */


	;; [unrolled: 1-line block ×3, first 2 shown]
/* global read addresses: unroll offsets b */


	;; [unrolled: 1-line block ×3, first 2 shown]
/* global read addresses: branch a */


	;; [unrolled: 1-line block ×3, first 2 shown]
/* global read addresses: branch b */


	;; [unrolled: 1-line block ×3, first 2 shown]
/* global read addresses: final offsets a */

GLOBAL_OFFSET_A vgprGlobalReadOffsetA+0,  1,  0, 4 // gROA_0_0_0_0
s_mul_i32 s[sgprScalarGlobalReadOffsetA+0], s[sgprStrideA0I], 16 // compute offset diff (scaled tileDim)
s_lshl_b32 s[sgprScalarGlobalReadOffsetA+0], s[sgprScalarGlobalReadOffsetA+0], 0x3 // scalar offset *= bytes/element
s_mul_i32 s[sgprScalarGlobalReadOffsetA+1], s[sgprStrideA0I], 32 // compute offset diff (scaled tileDim)
s_lshl_b32 s[sgprScalarGlobalReadOffsetA+1], s[sgprScalarGlobalReadOffsetA+1], 0x3 // scalar offset *= bytes/element
	;; [unrolled: 2-line block ×7, first 2 shown]


/* global read addresses: final offsets b */

GLOBAL_OFFSET_B vgprGlobalReadOffsetB+0,  2,  3, 4 // gROB_0_0_0_0
s_mul_i32 s[sgprScalarGlobalReadOffsetB+0], s[sgprStrideBL], 0 // compute offset diff (scaled unrollDim)
s_add_u32 s[sgprScalarGlobalReadOffsetB+0], s[sgprScalarGlobalReadOffsetB+0], 16 // compute offset diff (tileDim)
s_lshl_b32 s[sgprScalarGlobalReadOffsetB+0], s[sgprScalarGlobalReadOffsetB+0], 0x3 // scalar offset *= bytes/element
s_mul_i32 s[sgprScalarGlobalReadOffsetB+1], s[sgprStrideBL], 0 // compute offset diff (scaled unrollDim)
s_add_u32 s[sgprScalarGlobalReadOffsetB+1], s[sgprScalarGlobalReadOffsetB+1], 32 // compute offset diff (tileDim)
s_lshl_b32 s[sgprScalarGlobalReadOffsetB+1], s[sgprScalarGlobalReadOffsetB+1], 0x3 // scalar offset *= bytes/element
	;; [unrolled: 3-line block ×6, first 2 shown]


/* global read addresses: addresses a */

/* max read offset = size[n] * stride[n-1] */
s_mul_hi_u32 s35, s[sgprWorkGroup0], 128           // WorkGroup[01] * MT
s_mul_i32 s34, s[sgprWorkGroup0], 128              // WorkGroup[01] * MT
s_mul_hi_u32 s35, s34, s[sgprStrideA0I]            // tlu=0, scaled tile-offset by stride
s_mul_i32 s34, s34, s[sgprStrideA0I]               // tlu=0, scaled tile-offset by stride
s_sub_u32 s[sgprShadowLimitA+0], s[sgprTensor2dSizeA], s34 // sub tileStart
s_subb_u32 s[sgprShadowLimitA+1], s[sgprTensor2dSizeA+1], s35 // sub tileStart
s_lshl_b64 s[sgprShadowLimitA:sgprShadowLimitA+1], s[sgprShadowLimitA:sgprShadowLimitA+1], 0x3 // Set limit to use bytes
s_add_u32 s[sgprShadowLimitA+0], s[sgprShadowLimitA+0], 16 // extend limit for pre-pad
s_addc_u32 s[sgprShadowLimitA+1], s[sgprShadowLimitA+1], 0 // extend limit for pre-pad
s_cmp_eq_u32 s[sgprShadowLimitA+1], 0              // are we within 2^32?
s_cselect_b32 s[sgprSrdA+2], s[sgprShadowLimitA+0], BufferLimitA // Move shadow to real if we are within 2^32
s_mul_hi_u32 s33, s[sgprStrideAK], s[sgprWorkGroup2] // Stride*WG
s_mul_i32 s32, s[sgprStrideAK], s[sgprWorkGroup2]  // Stride*WG
s_add_u32 s34, s34, s32                            // accum wg term to tilestart
s_addc_u32 s35, s35, s33                           // accum wg term to tilestart
s_lshl_b64 s[34:35], s[34:35], 0x3                 // tileStart *= BPE
s_add_u32 s[sgprSrdA+0], s[sgprSrdA+0], s34        // SRD base = Address+ tileStart0
s_addc_u32 s[sgprSrdA+1], s[sgprSrdA+1], s35       // SRD base = Address+ tileStart1
s_mov_b32 s[sgprSrdA+3], Srd127_96                 // Set bits 127_96 in SRD


/* global read addresses: addresses b */

/* max read offset = size[n] * stride[n-1] */
s_mul_hi_u32 s35, s[sgprWorkGroup1], 112           // WorkGroup[01] * MT
s_mul_i32 s34, s[sgprWorkGroup1], 112              // WorkGroup[01] * MT
s_sub_u32 s[sgprShadowLimitB+0], s[sgprTensor2dSizeB], s34 // sub tileStart
s_subb_u32 s[sgprShadowLimitB+1], s[sgprTensor2dSizeB+1], s35 // sub tileStart
s_lshl_b64 s[sgprShadowLimitB:sgprShadowLimitB+1], s[sgprShadowLimitB:sgprShadowLimitB+1], 0x3 // Set limit to use bytes
s_add_u32 s[sgprShadowLimitB+0], s[sgprShadowLimitB+0], 16 // extend limit for pre-pad
s_addc_u32 s[sgprShadowLimitB+1], s[sgprShadowLimitB+1], 0 // extend limit for pre-pad
s_cmp_eq_u32 s[sgprShadowLimitB+1], 0              // are we within 2^32?
s_cselect_b32 s[sgprSrdB+2], s[sgprShadowLimitB+0], BufferLimitB // Move shadow to real if we are within 2^32
s_mul_hi_u32 s33, s[sgprStrideBK], s[sgprWorkGroup2] // Stride*WG
s_mul_i32 s32, s[sgprStrideBK], s[sgprWorkGroup2]  // Stride*WG
s_add_u32 s34, s34, s32                            // accum wg term to tilestart
s_addc_u32 s35, s35, s33                           // accum wg term to tilestart
s_lshl_b64 s[34:35], s[34:35], 0x3                 // tileStart *= BPE
s_add_u32 s[sgprSrdB+0], s[sgprSrdB+0], s34        // SRD base = Address+ tileStart0
s_addc_u32 s[sgprSrdB+1], s[sgprSrdB+1], s35       // SRD base = Address+ tileStart1
s_mov_b32 s[sgprSrdB+3], Srd127_96                 // Set bits 127_96 in SRD


/* global read addresses: increments a */

s_mov_b32 s[sgprGlobalReadIncsA+0], DepthU*BpeA    // incrA (unrollIdx)


/* global read addresses: increments b */

s_mul_i32 s[sgprGlobalReadIncsB+0], DepthU*BpeB, s[sgprStrideBL] // incrB unrollIdx)

/* declare loop num iterations */


s_lshr_b32 s[sgprLoopCounterL], s[sgprSizesSum+0], 5 // s[sgprLoopCounterL] = s[sgprSizesSum+0] / 32
s_mov_b32 s[sgprOrigLoopCounter], s[sgprLoopCounterL] // copy loop counter

/* local read addresses: init pointers a */


/* localReadInitPointers */

/* local read addresses: init pointers b */


/* localReadInitPointers */


/* prefetch: global -> local */

s_cmp_eq_u32 s[sgprLoopCounterL], 0                // at last iteration?
s_cbranch_scc1 ShadowInitStart_10                  // skip to ShadowInitStart iter b/c numIter==0


_buffer_load_b128 v[vgprG2LA+0:vgprG2LA+0+3], v[vgprGlobalReadOffsetA+0], s[sgprSrdA:sgprSrdA+3], 0, offen offset:0 // G -> Reg 0_0_0_0
_buffer_load_b128 v[vgprG2LA+4:vgprG2LA+4+3], v[vgprGlobalReadOffsetA+0], s[sgprSrdA:sgprSrdA+3], s[sgprScalarGlobalReadOffsetA+0], offen offset:0 // G -> Reg 0_0_1_0
_buffer_load_b128 v[vgprG2LA+8:vgprG2LA+8+3], v[vgprGlobalReadOffsetA+0], s[sgprSrdA:sgprSrdA+3], s[sgprScalarGlobalReadOffsetA+1], offen offset:0 // G -> Reg 0_0_2_0
_buffer_load_b128 v[vgprG2LA+12:vgprG2LA+12+3], v[vgprGlobalReadOffsetA+0], s[sgprSrdA:sgprSrdA+3], s[sgprScalarGlobalReadOffsetA+2], offen offset:0 // G -> Reg 0_0_3_0
_buffer_load_b128 v[vgprG2LA+16:vgprG2LA+16+3], v[vgprGlobalReadOffsetA+0], s[sgprSrdA:sgprSrdA+3], s[sgprScalarGlobalReadOffsetA+3], offen offset:0 // G -> Reg 0_0_4_0
_buffer_load_b128 v[vgprG2LA+20:vgprG2LA+20+3], v[vgprGlobalReadOffsetA+0], s[sgprSrdA:sgprSrdA+3], s[sgprScalarGlobalReadOffsetA+4], offen offset:0 // G -> Reg 0_0_5_0
_buffer_load_b128 v[vgprG2LA+24:vgprG2LA+24+3], v[vgprGlobalReadOffsetA+0], s[sgprSrdA:sgprSrdA+3], s[sgprScalarGlobalReadOffsetA+5], offen offset:0 // G -> Reg 0_0_6_0
_buffer_load_b128 v[vgprG2LA+28:vgprG2LA+28+3], v[vgprGlobalReadOffsetA+0], s[sgprSrdA:sgprSrdA+3], s[sgprScalarGlobalReadOffsetA+6], offen offset:0 // G -> Reg 0_0_7_0


_buffer_load_b128 v[vgprG2LB+0:vgprG2LB+0+3], v[vgprGlobalReadOffsetB+0], s[sgprSrdB:sgprSrdB+3], 0, offen offset:0 // G -> Reg 0_0_0_0
_buffer_load_b128 v[vgprG2LB+4:vgprG2LB+4+3], v[vgprGlobalReadOffsetB+0], s[sgprSrdB:sgprSrdB+3], s[sgprScalarGlobalReadOffsetB+0], offen offset:0 // G -> Reg 1_0_0_0
_buffer_load_b128 v[vgprG2LB+8:vgprG2LB+8+3], v[vgprGlobalReadOffsetB+0], s[sgprSrdB:sgprSrdB+3], s[sgprScalarGlobalReadOffsetB+1], offen offset:0 // G -> Reg 2_0_0_0
_buffer_load_b128 v[vgprG2LB+12:vgprG2LB+12+3], v[vgprGlobalReadOffsetB+0], s[sgprSrdB:sgprSrdB+3], s[sgprScalarGlobalReadOffsetB+2], offen offset:0 // G -> Reg 3_0_0_0
_buffer_load_b128 v[vgprG2LB+16:vgprG2LB+16+3], v[vgprGlobalReadOffsetB+0], s[sgprSrdB:sgprSrdB+3], s[sgprScalarGlobalReadOffsetB+3], offen offset:0 // G -> Reg 4_0_0_0
_buffer_load_b128 v[vgprG2LB+20:vgprG2LB+20+3], v[vgprGlobalReadOffsetB+0], s[sgprSrdB:sgprSrdB+3], s[sgprScalarGlobalReadOffsetB+4], offen offset:0 // G -> Reg 5_0_0_0
_buffer_load_b128 v[vgprG2LB+24:vgprG2LB+24+3], v[vgprGlobalReadOffsetB+0], s[sgprSrdB:sgprSrdB+3], s[sgprScalarGlobalReadOffsetB+5], offen offset:0 // G -> Reg 6_0_0_0


/* global read inc A loopL */
s_add_u32 s[sgprSrdA+0], s[sgprSrdA+0], s[sgprGlobalReadIncsA+0] // gra SRD += inc(lower)
s_addc_u32  s[sgprSrdA+1], s[sgprSrdA+1], 0        // gra SRD += inc(upper)
s_sub_u32 s[sgprShadowLimitA+0], s[sgprShadowLimitA+0], s[sgprGlobalReadIncsA+0] // limit -= inc)
s_subb_u32 s[sgprShadowLimitA+1], s[sgprShadowLimitA+1], 0 // limit -= inc)
s_cmp_eq_u32 s[sgprShadowLimitA+1], 0              // are we within 2^32?
s_cmov_b32 s[sgprSrdA+2], s[sgprShadowLimitA+0]    // Move shadow to real if we are within 2^32

/* global read inc B loopL */
s_add_u32 s[sgprSrdB+0], s[sgprSrdB+0], s[sgprGlobalReadIncsB+0] // gra SRD += inc(lower)
s_addc_u32  s[sgprSrdB+1], s[sgprSrdB+1], 0        // gra SRD += inc(upper)
s_sub_u32 s[sgprShadowLimitB+0], s[sgprShadowLimitB+0], s[sgprGlobalReadIncsB+0] // limit -= inc)
s_subb_u32 s[sgprShadowLimitB+1], s[sgprShadowLimitB+1], 0 // limit -= inc)
s_cmp_eq_u32 s[sgprShadowLimitB+1], 0              // are we within 2^32?
s_cmov_b32 s[sgprSrdB+2], s[sgprShadowLimitB+0]    // Move shadow to real if we are within 2^32


/******************************************/
/* End setupNewTile, isPap=False             */
/******************************************/

ShadowInitStart_10: // 

s_mov_b32 s[sgprSrdD+2], BufferOOB                 // 
s_mov_b32 s[sgprSrdD+3], Srd127_96                 // Set bits 127_96 in post-loop SRD

s_mov_b32 s[sgprSrdC+2], BufferOOB                 // 
s_mov_b32 s[sgprSrdC+3], Srd127_96                 // Set bits 127_96 in post-loop SRD


s_mul_i32 s34, MT1, s[sgprWorkGroup1]              // <- wg1*MT1
s_mul_hi_u32 s33, s34, s[sgprStrideC1J]            // CScale s34 by Stride
s_mul_i32 s32, s34, s[sgprStrideC1J]               // CScale s34 by Stride
s_lshl_b64 s[32:33], s[32:33], 3                   // scale by bpe
s_add_u32 s[sgprSrdC+0], s[sgprSrdC+0], s32        // add lo to SRD
s_addc_u32 s[sgprSrdC+1], s[sgprSrdC+1], s33       // add hi to SRD
s_mul_hi_u32 s33, s34, s[sgprStrideD1J]            // Scale s34 by Stride
s_mul_i32 s32, s34, s[sgprStrideD1J]               // Scale s34 by Stride
s_lshl_b64 s[32:33], s[32:33], 3                   // scale by bpe
s_add_u32 s[sgprSrdD+0], s[sgprSrdD+0], s32        // add lo to SRD
s_addc_u32 s[sgprSrdD+1], s[sgprSrdD+1], s33       // add hi to SRD

s_mul_hi_u32 s33, s[sgprWorkGroup2], s[sgprStrideCK] // CScale s[sgprWorkGroup2] by Stride
s_mul_i32 s32, s[sgprWorkGroup2], s[sgprStrideCK]  // CScale s[sgprWorkGroup2] by Stride
s_lshl_b64 s[32:33], s[32:33], 3                   // scale by bpe
s_add_u32 s[sgprSrdC+0], s[sgprSrdC+0], s32        // add lo to SRD
s_addc_u32 s[sgprSrdC+1], s[sgprSrdC+1], s33       // add hi to SRD
s_mul_hi_u32 s33, s[sgprWorkGroup2], s[sgprStrideDK] // Scale s[sgprWorkGroup2] by Stride
s_mul_i32 s32, s[sgprWorkGroup2], s[sgprStrideDK]  // Scale s[sgprWorkGroup2] by Stride
s_lshl_b64 s[32:33], s[32:33], 3                   // scale by bpe
s_add_u32 s[sgprSrdD+0], s[sgprSrdD+0], s32        // add lo to SRD
s_addc_u32 s[sgprSrdD+1], s[sgprSrdD+1], s33       // add hi to SRD


	;; [unrolled: 1-line block ×3, first 2 shown]
/* initC: remove C-tile 0-0 from pool */

/* initC: remove AB-tile 0-144 from pool */
v_accvgpr_write acc0, 0x0                          // initC
v_accvgpr_write acc1, 0x0                          // initC
v_accvgpr_write acc2, 0x0                          // initC
v_accvgpr_write acc3, 0x0                          // initC
v_accvgpr_write acc4, 0x0                          // initC
v_accvgpr_write acc5, 0x0                          // initC
v_accvgpr_write acc6, 0x0                          // initC
v_accvgpr_write acc7, 0x0                          // initC
v_accvgpr_write acc8, 0x0                          // initC
v_accvgpr_write acc9, 0x0                          // initC
v_accvgpr_write acc10, 0x0                         // initC
v_accvgpr_write acc11, 0x0                         // initC
v_accvgpr_write acc12, 0x0                         // initC
v_accvgpr_write acc13, 0x0                         // initC
v_accvgpr_write acc14, 0x0                         // initC
v_accvgpr_write acc15, 0x0                         // initC
v_accvgpr_write acc16, 0x0                         // initC
v_accvgpr_write acc17, 0x0                         // initC
v_accvgpr_write acc18, 0x0                         // initC
v_accvgpr_write acc19, 0x0                         // initC
v_accvgpr_write acc20, 0x0                         // initC
v_accvgpr_write acc21, 0x0                         // initC
v_accvgpr_write acc22, 0x0                         // initC
v_accvgpr_write acc23, 0x0                         // initC
v_accvgpr_write acc24, 0x0                         // initC
v_accvgpr_write acc25, 0x0                         // initC
v_accvgpr_write acc26, 0x0                         // initC
v_accvgpr_write acc27, 0x0                         // initC
v_accvgpr_write acc28, 0x0                         // initC
v_accvgpr_write acc29, 0x0                         // initC
v_accvgpr_write acc30, 0x0                         // initC
v_accvgpr_write acc31, 0x0                         // initC
v_accvgpr_write acc32, 0x0                         // initC
v_accvgpr_write acc33, 0x0                         // initC
v_accvgpr_write acc34, 0x0                         // initC
v_accvgpr_write acc35, 0x0                         // initC
v_accvgpr_write acc36, 0x0                         // initC
v_accvgpr_write acc37, 0x0                         // initC
v_accvgpr_write acc38, 0x0                         // initC
v_accvgpr_write acc39, 0x0                         // initC
v_accvgpr_write acc40, 0x0                         // initC
v_accvgpr_write acc41, 0x0                         // initC
v_accvgpr_write acc42, 0x0                         // initC
v_accvgpr_write acc43, 0x0                         // initC
v_accvgpr_write acc44, 0x0                         // initC
v_accvgpr_write acc45, 0x0                         // initC
v_accvgpr_write acc46, 0x0                         // initC
v_accvgpr_write acc47, 0x0                         // initC
v_accvgpr_write acc48, 0x0                         // initC
v_accvgpr_write acc49, 0x0                         // initC
v_accvgpr_write acc50, 0x0                         // initC
v_accvgpr_write acc51, 0x0                         // initC
v_accvgpr_write acc52, 0x0                         // initC
v_accvgpr_write acc53, 0x0                         // initC
v_accvgpr_write acc54, 0x0                         // initC
v_accvgpr_write acc55, 0x0                         // initC
v_accvgpr_write acc56, 0x0                         // initC
v_accvgpr_write acc57, 0x0                         // initC
v_accvgpr_write acc58, 0x0                         // initC
v_accvgpr_write acc59, 0x0                         // initC
v_accvgpr_write acc60, 0x0                         // initC
v_accvgpr_write acc61, 0x0                         // initC
v_accvgpr_write acc62, 0x0                         // initC
v_accvgpr_write acc63, 0x0                         // initC
v_accvgpr_write acc64, 0x0                         // initC
v_accvgpr_write acc65, 0x0                         // initC
v_accvgpr_write acc66, 0x0                         // initC
v_accvgpr_write acc67, 0x0                         // initC
v_accvgpr_write acc68, 0x0                         // initC
v_accvgpr_write acc69, 0x0                         // initC
v_accvgpr_write acc70, 0x0                         // initC
v_accvgpr_write acc71, 0x0                         // initC
v_accvgpr_write acc72, 0x0                         // initC
v_accvgpr_write acc73, 0x0                         // initC
v_accvgpr_write acc74, 0x0                         // initC
v_accvgpr_write acc75, 0x0                         // initC
v_accvgpr_write acc76, 0x0                         // initC
v_accvgpr_write acc77, 0x0                         // initC
v_accvgpr_write acc78, 0x0                         // initC
v_accvgpr_write acc79, 0x0                         // initC
v_accvgpr_write acc80, 0x0                         // initC
v_accvgpr_write acc81, 0x0                         // initC
v_accvgpr_write acc82, 0x0                         // initC
v_accvgpr_write acc83, 0x0                         // initC
v_accvgpr_write acc84, 0x0                         // initC
v_accvgpr_write acc85, 0x0                         // initC
v_accvgpr_write acc86, 0x0                         // initC
v_accvgpr_write acc87, 0x0                         // initC
v_accvgpr_write acc88, 0x0                         // initC
v_accvgpr_write acc89, 0x0                         // initC
v_accvgpr_write acc90, 0x0                         // initC
v_accvgpr_write acc91, 0x0                         // initC
v_accvgpr_write acc92, 0x0                         // initC
v_accvgpr_write acc93, 0x0                         // initC
v_accvgpr_write acc94, 0x0                         // initC
v_accvgpr_write acc95, 0x0                         // initC
v_accvgpr_write acc96, 0x0                         // initC
v_accvgpr_write acc97, 0x0                         // initC
v_accvgpr_write acc98, 0x0                         // initC
v_accvgpr_write acc99, 0x0                         // initC
v_accvgpr_write acc100, 0x0                        // initC
v_accvgpr_write acc101, 0x0                        // initC
v_accvgpr_write acc102, 0x0                        // initC
v_accvgpr_write acc103, 0x0                        // initC
v_accvgpr_write acc104, 0x0                        // initC
v_accvgpr_write acc105, 0x0                        // initC
v_accvgpr_write acc106, 0x0                        // initC
v_accvgpr_write acc107, 0x0                        // initC
v_accvgpr_write acc108, 0x0                        // initC
v_accvgpr_write acc109, 0x0                        // initC
v_accvgpr_write acc110, 0x0                        // initC
v_accvgpr_write acc111, 0x0                        // initC

s_cmp_eq_u32 s[sgprLoopCounterL], 0                // at last iteration?

/* after InitC, skip to end of prefetch last iter if numIter==0 */
s_cbranch_scc0 label_NoBranch_11                   // Only branch on scc1
s_getpc_B64 s[32:33]                               // addr of next instr
s_add_i32 s34, PrefetchGlobalLastIterEnd_5, 0x4    // target branch offset
s_add_u32 s32, s32, s34                            // add target branch offset
s_addc_u32 s33, s33, 0                             // add high and carry
s_setpc_b64 s[32:33]                               // branch to PrefetchGlobalLastIterEnd_5
label_NoBranch_11:

s_waitcnt vmcnt(0)                                 // lgkmcnt=-1 vmcnt=0 8wait for global read


/* local write a */
_ds_store_b128 v[vgprLocalWriteAddrA], v[vgprG2LA+0:vgprG2LA+0+3] offset:0 // lwoA_0_0_0_0 = (0*LSCA)*(MT0I+PAD) + (0*LSPA) = 0
_ds_store_b128 v[vgprLocalWriteAddrA], v[vgprG2LA+4:vgprG2LA+4+3] offset:4352 // lwoA_0_0_1_0 = (0*LSCA)*(MT0I+PAD) + (1*LSPA) = 4352
_ds_store_b128 v[vgprLocalWriteAddrA], v[vgprG2LA+8:vgprG2LA+8+3] offset:8704 // lwoA_0_0_2_0 = (0*LSCA)*(MT0I+PAD) + (2*LSPA) = 8704
_ds_store_b128 v[vgprLocalWriteAddrA], v[vgprG2LA+12:vgprG2LA+12+3] offset:13056 // lwoA_0_0_3_0 = (0*LSCA)*(MT0I+PAD) + (3*LSPA) = 13056
_ds_store_b128 v[vgprLocalWriteAddrA], v[vgprG2LA+16:vgprG2LA+16+3] offset:17408 // lwoA_0_0_4_0 = (0*LSCA)*(MT0I+PAD) + (4*LSPA) = 17408
_ds_store_b128 v[vgprLocalWriteAddrA], v[vgprG2LA+20:vgprG2LA+20+3] offset:21760 // lwoA_0_0_5_0 = (0*LSCA)*(MT0I+PAD) + (5*LSPA) = 21760
_ds_store_b128 v[vgprLocalWriteAddrA], v[vgprG2LA+24:vgprG2LA+24+3] offset:26112 // lwoA_0_0_6_0 = (0*LSCA)*(MT0I+PAD) + (6*LSPA) = 26112
_ds_store_b128 v[vgprLocalWriteAddrA], v[vgprG2LA+28:vgprG2LA+28+3] offset:30464 // lwoA_0_0_7_0 = (0*LSCA)*(MT0I+PAD) + (7*LSPA) = 30464

/* local write b */
_ds_store_b128 v[vgprLocalWriteAddrB], v[vgprG2LB+0:vgprG2LB+0+3] offset:0 // lwoB_0_0_0_0 = (0*LSCB) + (0*LSPB)(*MT1J+PAD) = 0
_ds_store_b128 v[vgprLocalWriteAddrB], v[vgprG2LB+4:vgprG2LB+4+3] offset:128 // lwoB_1_0_0_0 = (1*LSCB) + (0*LSPB)(*MT1J+PAD) = 128
_ds_store_b128 v[vgprLocalWriteAddrB], v[vgprG2LB+8:vgprG2LB+8+3] offset:256 // lwoB_2_0_0_0 = (2*LSCB) + (0*LSPB)(*MT1J+PAD) = 256
_ds_store_b128 v[vgprLocalWriteAddrB], v[vgprG2LB+12:vgprG2LB+12+3] offset:384 // lwoB_3_0_0_0 = (3*LSCB) + (0*LSPB)(*MT1J+PAD) = 384
_ds_store_b128 v[vgprLocalWriteAddrB], v[vgprG2LB+16:vgprG2LB+16+3] offset:512 // lwoB_4_0_0_0 = (4*LSCB) + (0*LSPB)(*MT1J+PAD) = 512
_ds_store_b128 v[vgprLocalWriteAddrB], v[vgprG2LB+20:vgprG2LB+20+3] offset:640 // lwoB_5_0_0_0 = (5*LSCB) + (0*LSPB)(*MT1J+PAD) = 640
_ds_store_b128 v[vgprLocalWriteAddrB], v[vgprG2LB+24:vgprG2LB+24+3] offset:768 // lwoB_6_0_0_0 = (6*LSCB) + (0*LSPB)(*MT1J+PAD) = 768


/* local write swap a */



/* local write swap b */


	;; [unrolled: 1-line block ×4, first 2 shown]
s_cmp_eq_u32 s[sgprLoopCounterL] 0x1               // PGR=2 but only 1 loop
s_cbranch_scc1 label_0012                          // PGR=2 but only 1 loop


_buffer_load_b128 v[vgprG2LA+0:vgprG2LA+0+3], v[vgprGlobalReadOffsetA+0], s[sgprSrdA:sgprSrdA+3], 0, offen offset:0 // G -> Reg 0_0_0_0
_buffer_load_b128 v[vgprG2LA+4:vgprG2LA+4+3], v[vgprGlobalReadOffsetA+0], s[sgprSrdA:sgprSrdA+3], s[sgprScalarGlobalReadOffsetA+0], offen offset:0 // G -> Reg 0_0_1_0
_buffer_load_b128 v[vgprG2LA+8:vgprG2LA+8+3], v[vgprGlobalReadOffsetA+0], s[sgprSrdA:sgprSrdA+3], s[sgprScalarGlobalReadOffsetA+1], offen offset:0 // G -> Reg 0_0_2_0
_buffer_load_b128 v[vgprG2LA+12:vgprG2LA+12+3], v[vgprGlobalReadOffsetA+0], s[sgprSrdA:sgprSrdA+3], s[sgprScalarGlobalReadOffsetA+2], offen offset:0 // G -> Reg 0_0_3_0
_buffer_load_b128 v[vgprG2LA+16:vgprG2LA+16+3], v[vgprGlobalReadOffsetA+0], s[sgprSrdA:sgprSrdA+3], s[sgprScalarGlobalReadOffsetA+3], offen offset:0 // G -> Reg 0_0_4_0
_buffer_load_b128 v[vgprG2LA+20:vgprG2LA+20+3], v[vgprGlobalReadOffsetA+0], s[sgprSrdA:sgprSrdA+3], s[sgprScalarGlobalReadOffsetA+4], offen offset:0 // G -> Reg 0_0_5_0
_buffer_load_b128 v[vgprG2LA+24:vgprG2LA+24+3], v[vgprGlobalReadOffsetA+0], s[sgprSrdA:sgprSrdA+3], s[sgprScalarGlobalReadOffsetA+5], offen offset:0 // G -> Reg 0_0_6_0
_buffer_load_b128 v[vgprG2LA+28:vgprG2LA+28+3], v[vgprGlobalReadOffsetA+0], s[sgprSrdA:sgprSrdA+3], s[sgprScalarGlobalReadOffsetA+6], offen offset:0 // G -> Reg 0_0_7_0


_buffer_load_b128 v[vgprG2LB+0:vgprG2LB+0+3], v[vgprGlobalReadOffsetB+0], s[sgprSrdB:sgprSrdB+3], 0, offen offset:0 // G -> Reg 0_0_0_0
_buffer_load_b128 v[vgprG2LB+4:vgprG2LB+4+3], v[vgprGlobalReadOffsetB+0], s[sgprSrdB:sgprSrdB+3], s[sgprScalarGlobalReadOffsetB+0], offen offset:0 // G -> Reg 1_0_0_0
_buffer_load_b128 v[vgprG2LB+8:vgprG2LB+8+3], v[vgprGlobalReadOffsetB+0], s[sgprSrdB:sgprSrdB+3], s[sgprScalarGlobalReadOffsetB+1], offen offset:0 // G -> Reg 2_0_0_0
_buffer_load_b128 v[vgprG2LB+12:vgprG2LB+12+3], v[vgprGlobalReadOffsetB+0], s[sgprSrdB:sgprSrdB+3], s[sgprScalarGlobalReadOffsetB+2], offen offset:0 // G -> Reg 3_0_0_0
_buffer_load_b128 v[vgprG2LB+16:vgprG2LB+16+3], v[vgprGlobalReadOffsetB+0], s[sgprSrdB:sgprSrdB+3], s[sgprScalarGlobalReadOffsetB+3], offen offset:0 // G -> Reg 4_0_0_0
_buffer_load_b128 v[vgprG2LB+20:vgprG2LB+20+3], v[vgprGlobalReadOffsetB+0], s[sgprSrdB:sgprSrdB+3], s[sgprScalarGlobalReadOffsetB+4], offen offset:0 // G -> Reg 5_0_0_0
_buffer_load_b128 v[vgprG2LB+24:vgprG2LB+24+3], v[vgprGlobalReadOffsetB+0], s[sgprSrdB:sgprSrdB+3], s[sgprScalarGlobalReadOffsetB+5], offen offset:0 // G -> Reg 6_0_0_0

label_0012:                                        // 

s_waitcnt lgkmcnt(0)                               // lgkmcnt=0 vmcnt=-10prefetch wait for local write

// Skip force waitcnt0
s_barrier //


/* local read prefetch a */

_ds_load_b128 v[vgprValuA_X0_I0+0:vgprValuA_X0_I0+0+3], v[vgprLocalReadAddrA] offset:0 // L -> Reg lro=0 swapByteOffset=0 ti=128 vIdx=0 rIdx=0 oIdx=0 buffer=0 iui=0
_ds_load_b128 v[vgprValuA_X0_I0+4:vgprValuA_X0_I0+4+3], v[vgprLocalReadAddrA] offset:256 // L -> Reg lro=0 swapByteOffset=0 ti=128 vIdx=0 rIdx=0 oIdx=0 buffer=0 iui=0


/* local read prefetch b */

_ds_load_b64 v[vgprValuB_X0_I0+0:vgprValuB_X0_I0+0+1], v[vgprLocalReadAddrB] offset:0 // L -> Reg lro=0 swapByteOffset=0 ti=16 vIdx=0 rIdx=0 oIdx=0 buffer=0 iui=0
_ds_load_b64 v[vgprValuB_X0_I0+2:vgprValuB_X0_I0+2+1], v[vgprLocalReadAddrB] offset:128 // L -> Reg lro=0 swapByteOffset=0 ti=16 vIdx=1 rIdx=0 oIdx=0 buffer=0 iui=0
	;; [unrolled: 1-line block ×7, first 2 shown]


/* local read inc a */

/* N/A, lro->8 */
/* self.localReadDoCntA 1 self.localReadDoCntB 1 */


/* local read inc b */

/* N/A, lro->112 */
/* self.localReadDoCntA 1 self.localReadDoCntB 1 */


	;; [unrolled: 1-line block ×3, first 2 shown]
/******************************************/
/* Unrolled Loop(s) - Begin               */
/******************************************/

openLoopL_13:
s_cmp_eq_u32 s[sgprLoopCounterL], 0x1              // LoopCounterL < EndCounter
s_cbranch_scc1 label_0014                          // PGR=2 but only 1 loop, toPGR1
s_cmp_le_u32 s[sgprLoopCounterL], 0x2              // LoopCounterL < EndCounter
s_cbranch_scc1 LoopEndL_evenexit_4                 // do not enter LoopL
LoopBeginL_1:


/******************************************/
/* Unrolled Loop 1/2 - Begin              */
/******************************************/

label_0015: // LoopCopy1 


/* Begin Each Unroll: Check VGPR.checkin for INT8 LW */


	;; [unrolled: 1-line block ×3, first 2 shown]
/* iter 0 */

/*  grEndMfmaIndex:4, lwStartMfmaIndex:37, lwEndMfmaIndex:101  */
/*  numMfmaForLR:8, barrierMfmaIndex:103, LocalWritePerMfma:0.220 */
/*  mfmaIndex:0  */
s_waitcnt lgkmcnt(0)                               // lgkmcnt=0 vmcnt=-1wait for prior local read local write old=0, new=0 newLW=0 newLR=0
v_mfma_f64_16x16x4_f64 a[0+0:7+0], v[vgprValuB_X0_I0+0+0+0:vgprValuB_X0_I0+0+0+0+1], v[vgprValuA_X0_I0+0+0+0:vgprValuA_X0_I0+0+0+0+1], a[0:7]
/*  mfmaIndex:1  */
_ds_load_b128 v[vgprValuA_X2_I0+0:vgprValuA_X2_I0+0+3], v[vgprLocalReadAddrA] offset:64 // L -> Reg lro=8 swapByteOffset=0 ti=128 vIdx=0 rIdx=0 oIdx=0 buffer=2 iui=0

/* global read inc A loopL */
s_add_u32 s[sgprSrdA+0], s[sgprSrdA+0], s[sgprGlobalReadIncsA+0] // gra SRD += inc(lower)
s_addc_u32  s[sgprSrdA+1], s[sgprSrdA+1], 0        // gra SRD += inc(upper)
s_sub_u32 s[sgprShadowLimitA+0], s[sgprShadowLimitA+0], s[sgprGlobalReadIncsA+0] // limit -= inc)
v_mfma_f64_16x16x4_f64 a[8+0:15+0], v[vgprValuB_X0_I0+0+0+0:vgprValuB_X0_I0+0+0+0+1], v[vgprValuA_X0_I0+4+0+0:vgprValuA_X0_I0+4+0+0+1], a[8:15]
/*  mfmaIndex:2  */
_ds_load_b64 v[vgprValuB_X1_I0+0:vgprValuB_X1_I0+0+1], v[vgprLocalReadAddrB] offset:896 // L -> Reg lro=112 swapByteOffset=0 ti=16 vIdx=0 rIdx=0 oIdx=0 buffer=1 iui=0
s_subb_u32 s[sgprShadowLimitA+1], s[sgprShadowLimitA+1], 0 // limit -= inc)
s_cmp_eq_u32 s[sgprShadowLimitA+1], 0              // are we within 2^32?
s_cmov_b32 s[sgprSrdA+2], s[sgprShadowLimitA+0]    // Move shadow to real if we are within 2^32
v_mfma_f64_16x16x4_f64 a[24+0:31+0], v[vgprValuB_X0_I0+2+0+0:vgprValuB_X0_I0+2+0+0+1], v[vgprValuA_X0_I0+4+0+0:vgprValuA_X0_I0+4+0+0+1], a[24:31]
/*  mfmaIndex:3  */
_ds_load_b128 v[vgprValuA_X2_I0+4:vgprValuA_X2_I0+4+3], v[vgprLocalReadAddrA] offset:320 // L -> Reg lro=8 swapByteOffset=0 ti=128 vIdx=0 rIdx=0 oIdx=0 buffer=2 iui=0

/* global read inc B loopL */
s_add_u32 s[sgprSrdB+0], s[sgprSrdB+0], s[sgprGlobalReadIncsB+0] // gra SRD += inc(lower)
s_addc_u32  s[sgprSrdB+1], s[sgprSrdB+1], 0        // gra SRD += inc(upper)
s_sub_u32 s[sgprShadowLimitB+0], s[sgprShadowLimitB+0], s[sgprGlobalReadIncsB+0] // limit -= inc)
v_mfma_f64_16x16x4_f64 a[16+0:23+0], v[vgprValuB_X0_I0+2+0+0:vgprValuB_X0_I0+2+0+0+1], v[vgprValuA_X0_I0+0+0+0:vgprValuA_X0_I0+0+0+0+1], a[16:23]
/*  mfmaIndex:4  */
_ds_load_b64 v[vgprValuB_X1_I0+2:vgprValuB_X1_I0+2+1], v[vgprLocalReadAddrB] offset:1024 // L -> Reg lro=112 swapByteOffset=0 ti=16 vIdx=1 rIdx=0 oIdx=0 buffer=1 iui=0
_ds_load_b64 v[vgprValuB_X1_I0+4:vgprValuB_X1_I0+4+1], v[vgprLocalReadAddrB] offset:1152 // L -> Reg lro=112 swapByteOffset=0 ti=16 vIdx=2 rIdx=0 oIdx=0 buffer=1 iui=0
s_subb_u32 s[sgprShadowLimitB+1], s[sgprShadowLimitB+1], 0 // limit -= inc)
s_cmp_eq_u32 s[sgprShadowLimitB+1], 0              // are we within 2^32?
s_cmov_b32 s[sgprSrdB+2], s[sgprShadowLimitB+0]    // Move shadow to real if we are within 2^32
v_mfma_f64_16x16x4_f64 a[32+0:39+0], v[vgprValuB_X0_I0+4+0+0:vgprValuB_X0_I0+4+0+0+1], v[vgprValuA_X0_I0+0+0+0:vgprValuA_X0_I0+0+0+0+1], a[32:39]
/*  mfmaIndex:5  */
_ds_load_b64 v[vgprValuB_X1_I0+6:vgprValuB_X1_I0+6+1], v[vgprLocalReadAddrB] offset:1280 // L -> Reg lro=112 swapByteOffset=0 ti=16 vIdx=3 rIdx=0 oIdx=0 buffer=1 iui=0
_ds_load_b64 v[vgprValuB_X1_I0+8:vgprValuB_X1_I0+8+1], v[vgprLocalReadAddrB] offset:1408 // L -> Reg lro=112 swapByteOffset=0 ti=16 vIdx=4 rIdx=0 oIdx=0 buffer=1 iui=0
v_mfma_f64_16x16x4_f64 a[40+0:47+0], v[vgprValuB_X0_I0+4+0+0:vgprValuB_X0_I0+4+0+0+1], v[vgprValuA_X0_I0+4+0+0:vgprValuA_X0_I0+4+0+0+1], a[40:47]
/*  mfmaIndex:6  */
_ds_load_b64 v[vgprValuB_X1_I0+10:vgprValuB_X1_I0+10+1], v[vgprLocalReadAddrB] offset:1536 // L -> Reg lro=112 swapByteOffset=0 ti=16 vIdx=5 rIdx=0 oIdx=0 buffer=1 iui=0
_ds_load_b64 v[vgprValuB_X1_I0+12:vgprValuB_X1_I0+12+1], v[vgprLocalReadAddrB] offset:1664 // L -> Reg lro=112 swapByteOffset=0 ti=16 vIdx=6 rIdx=0 oIdx=0 buffer=1 iui=0
/* localReadsVacancy: latencyLeft 1 */
v_mfma_f64_16x16x4_f64 a[56+0:63+0], v[vgprValuB_X0_I0+6+0+0:vgprValuB_X0_I0+6+0+0+1], v[vgprValuA_X0_I0+4+0+0:vgprValuA_X0_I0+4+0+0+1], a[56:63]
/*  mfmaIndex:7  */
/* localReadsVacancy: latencyLeft 5 */
_ds_load_b128 v[vgprValuA_X4_I0+0:vgprValuA_X4_I0+0+3], v[vgprLocalReadAddrA] offset:128 // L -> Reg lro=16 swapByteOffset=0 ti=128 vIdx=0 rIdx=0 oIdx=0 buffer=4 iui=0
v_mfma_f64_16x16x4_f64 a[48+0:55+0], v[vgprValuB_X0_I0+6+0+0:vgprValuB_X0_I0+6+0+0+1], v[vgprValuA_X0_I0+0+0+0:vgprValuA_X0_I0+0+0+0+1], a[48:55]
/*  mfmaIndex:8  */
/* localReadsVacancy: latencyLeft 5 */
_ds_load_b64 v[vgprValuB_X2_I0+0:vgprValuB_X2_I0+0+1], v[vgprLocalReadAddrB] offset:7168 // L -> Reg lro=896 swapByteOffset=0 ti=16 vIdx=0 rIdx=0 oIdx=0 buffer=2 iui=0
v_mfma_f64_16x16x4_f64 a[64+0:71+0], v[vgprValuB_X0_I0+8+0+0:vgprValuB_X0_I0+8+0+0+1], v[vgprValuA_X0_I0+0+0+0:vgprValuA_X0_I0+0+0+0+1], a[64:71]
/*  mfmaIndex:9  */
/* localReadsVacancy: latencyLeft 5 */
_ds_load_b128 v[vgprValuA_X4_I0+4:vgprValuA_X4_I0+4+3], v[vgprLocalReadAddrA] offset:384 // L -> Reg lro=16 swapByteOffset=0 ti=128 vIdx=0 rIdx=0 oIdx=0 buffer=4 iui=0
v_mfma_f64_16x16x4_f64 a[72+0:79+0], v[vgprValuB_X0_I0+8+0+0:vgprValuB_X0_I0+8+0+0+1], v[vgprValuA_X0_I0+4+0+0:vgprValuA_X0_I0+4+0+0+1], a[72:79]
/*  mfmaIndex:10  */
/* localReadsVacancy: latencyLeft 5 */
_ds_load_b64 v[vgprValuB_X2_I0+2:vgprValuB_X2_I0+2+1], v[vgprLocalReadAddrB] offset:7296 // L -> Reg lro=896 swapByteOffset=0 ti=16 vIdx=1 rIdx=0 oIdx=0 buffer=2 iui=0
_ds_load_b64 v[vgprValuB_X2_I0+4:vgprValuB_X2_I0+4+1], v[vgprLocalReadAddrB] offset:7424 // L -> Reg lro=896 swapByteOffset=0 ti=16 vIdx=2 rIdx=0 oIdx=0 buffer=2 iui=0
v_mfma_f64_16x16x4_f64 a[88+0:95+0], v[vgprValuB_X0_I0+10+0+0:vgprValuB_X0_I0+10+0+0+1], v[vgprValuA_X0_I0+4+0+0:vgprValuA_X0_I0+4+0+0+1], a[88:95]
/*  mfmaIndex:11  */
/* localReadsVacancy: latencyLeft 5 */
_ds_load_b64 v[vgprValuB_X2_I0+6:vgprValuB_X2_I0+6+1], v[vgprLocalReadAddrB] offset:7552 // L -> Reg lro=896 swapByteOffset=0 ti=16 vIdx=3 rIdx=0 oIdx=0 buffer=2 iui=0
_ds_load_b64 v[vgprValuB_X2_I0+8:vgprValuB_X2_I0+8+1], v[vgprLocalReadAddrB] offset:7680 // L -> Reg lro=896 swapByteOffset=0 ti=16 vIdx=4 rIdx=0 oIdx=0 buffer=2 iui=0
	;; [unrolled: 5-line block ×3, first 2 shown]
v_mfma_f64_16x16x4_f64 a[96+0:103+0], v[vgprValuB_X0_I0+12+0+0:vgprValuB_X0_I0+12+0+0+1], v[vgprValuA_X0_I0+0+0+0:vgprValuA_X0_I0+0+0+0+1], a[96:103]
/*  mfmaIndex:13  */
/* localReadsVacancy: latencyLeft 5 */
_ds_load_b128 v[vgprValuA_X6_I0+0:vgprValuA_X6_I0+0+3], v[vgprLocalReadAddrA] offset:192 // L -> Reg lro=24 swapByteOffset=0 ti=128 vIdx=0 rIdx=0 oIdx=0 buffer=6 iui=0
v_mfma_f64_16x16x4_f64 a[104+0:111+0], v[vgprValuB_X0_I0+12+0+0:vgprValuB_X0_I0+12+0+0+1], v[vgprValuA_X0_I0+4+0+0:vgprValuA_X0_I0+4+0+0+1], a[104:111]
/* numPrefetchIter=0 */
/* dataAtIterA=-1 numReadsIterA=1 skipReadsIterA=1 readsPerIterA=2 */
/* dataAtIterB=-1 numReadsIterB=1 skipReadsIterB=1 readsPerIterB=7 */


/* iter 1 */

/*  grEndMfmaIndex:4, lwStartMfmaIndex:37, lwEndMfmaIndex:101  */
/*  numMfmaForLR:8, barrierMfmaIndex:103, LocalWritePerMfma:0.220 */
/*  mfmaIndex:14  */
/* localReadsVacancy: latencyLeft 5 */
_ds_load_b64 v[vgprValuB_X3_I0+0:vgprValuB_X3_I0+0+1], v[vgprLocalReadAddrB] offset:8064 // L -> Reg lro=1008 swapByteOffset=0 ti=16 vIdx=0 rIdx=0 oIdx=0 buffer=3 iui=0
s_waitcnt lgkmcnt(11)                              // lgkmcnt=0 vmcnt=-1wait for prior local read local write old=9, new=9 newLW=0 newLR=0
v_mfma_f64_16x16x4_f64 a[0+0:7+0], v[vgprValuB_X1_I0+0+0+0:vgprValuB_X1_I0+0+0+0+1], v[vgprValuA_X0_I0+0+2+0:vgprValuA_X0_I0+0+2+0+1], a[0:7]
/*  mfmaIndex:15  */
/* localReadsVacancy: latencyLeft 5 */
_ds_load_b128 v[vgprValuA_X6_I0+4:vgprValuA_X6_I0+4+3], v[vgprLocalReadAddrA] offset:448 // L -> Reg lro=24 swapByteOffset=0 ti=128 vIdx=0 rIdx=0 oIdx=0 buffer=6 iui=0
v_mfma_f64_16x16x4_f64 a[8+0:15+0], v[vgprValuB_X1_I0+0+0+0:vgprValuB_X1_I0+0+0+0+1], v[vgprValuA_X0_I0+4+2+0:vgprValuA_X0_I0+4+2+0+1], a[8:15]
/*  mfmaIndex:16  */
/* localReadsVacancy: latencyLeft 5 */
_ds_load_b64 v[vgprValuB_X3_I0+2:vgprValuB_X3_I0+2+1], v[vgprLocalReadAddrB] offset:8192 // L -> Reg lro=1008 swapByteOffset=0 ti=16 vIdx=1 rIdx=0 oIdx=0 buffer=3 iui=0
_ds_load_b64 v[vgprValuB_X3_I0+4:vgprValuB_X3_I0+4+1], v[vgprLocalReadAddrB] offset:8320 // L -> Reg lro=1008 swapByteOffset=0 ti=16 vIdx=2 rIdx=0 oIdx=0 buffer=3 iui=0
v_mfma_f64_16x16x4_f64 a[24+0:31+0], v[vgprValuB_X1_I0+2+0+0:vgprValuB_X1_I0+2+0+0+1], v[vgprValuA_X0_I0+4+2+0:vgprValuA_X0_I0+4+2+0+1], a[24:31]
/*  mfmaIndex:17  */
/* localReadsVacancy: latencyLeft 5 */
_ds_load_b64 v[vgprValuB_X3_I0+6:vgprValuB_X3_I0+6+1], v[vgprLocalReadAddrB] offset:8448 // L -> Reg lro=1008 swapByteOffset=0 ti=16 vIdx=3 rIdx=0 oIdx=0 buffer=3 iui=0
_ds_load_b64 v[vgprValuB_X3_I0+8:vgprValuB_X3_I0+8+1], v[vgprLocalReadAddrB] offset:8576 // L -> Reg lro=1008 swapByteOffset=0 ti=16 vIdx=4 rIdx=0 oIdx=0 buffer=3 iui=0
v_mfma_f64_16x16x4_f64 a[16+0:23+0], v[vgprValuB_X1_I0+2+0+0:vgprValuB_X1_I0+2+0+0+1], v[vgprValuA_X0_I0+0+2+0:vgprValuA_X0_I0+0+2+0+1], a[16:23]
/*  mfmaIndex:18  */
/* localReadsVacancy: latencyLeft 5 */
_ds_load_b64 v[vgprValuB_X3_I0+10:vgprValuB_X3_I0+10+1], v[vgprLocalReadAddrB] offset:8704 // L -> Reg lro=1008 swapByteOffset=0 ti=16 vIdx=5 rIdx=0 oIdx=0 buffer=3 iui=0
_ds_load_b64 v[vgprValuB_X3_I0+12:vgprValuB_X3_I0+12+1], v[vgprLocalReadAddrB] offset:8832 // L -> Reg lro=1008 swapByteOffset=0 ti=16 vIdx=6 rIdx=0 oIdx=0 buffer=3 iui=0
v_mfma_f64_16x16x4_f64 a[32+0:39+0], v[vgprValuB_X1_I0+4+0+0:vgprValuB_X1_I0+4+0+0+1], v[vgprValuA_X0_I0+0+2+0:vgprValuA_X0_I0+0+2+0+1], a[32:39]
/*  mfmaIndex:19  */
/* localReadsVacancy: latencyLeft 5 */
_ds_load_b64 v[vgprValuB_X4_I0+0:vgprValuB_X4_I0+0+1], v[vgprLocalReadAddrB] offset:14336 // L -> Reg lro=1792 swapByteOffset=0 ti=16 vIdx=0 rIdx=0 oIdx=0 buffer=4 iui=0
_ds_load_b64 v[vgprValuB_X4_I0+2:vgprValuB_X4_I0+2+1], v[vgprLocalReadAddrB] offset:14464 // L -> Reg lro=1792 swapByteOffset=0 ti=16 vIdx=1 rIdx=0 oIdx=0 buffer=4 iui=0
v_mfma_f64_16x16x4_f64 a[40+0:47+0], v[vgprValuB_X1_I0+4+0+0:vgprValuB_X1_I0+4+0+0+1], v[vgprValuA_X0_I0+4+2+0:vgprValuA_X0_I0+4+2+0+1], a[40:47]
/*  mfmaIndex:20  */
/* localReadsVacancy: latencyLeft 5 */
_ds_load_b64 v[vgprValuB_X4_I0+4:vgprValuB_X4_I0+4+1], v[vgprLocalReadAddrB] offset:14592 // L -> Reg lro=1792 swapByteOffset=0 ti=16 vIdx=2 rIdx=0 oIdx=0 buffer=4 iui=0
_ds_load_b64 v[vgprValuB_X4_I0+6:vgprValuB_X4_I0+6+1], v[vgprLocalReadAddrB] offset:14720 // L -> Reg lro=1792 swapByteOffset=0 ti=16 vIdx=3 rIdx=0 oIdx=0 buffer=4 iui=0
	;; [unrolled: 5-line block ×3, first 2 shown]
v_mfma_f64_16x16x4_f64 a[48+0:55+0], v[vgprValuB_X1_I0+6+0+0:vgprValuB_X1_I0+6+0+0+1], v[vgprValuA_X0_I0+0+2+0:vgprValuA_X0_I0+0+2+0+1], a[48:55]
/*  mfmaIndex:22  */
/* localReadsVacancy: latencyLeft 5 */
_ds_load_b64 v[vgprValuB_X4_I0+12:vgprValuB_X4_I0+12+1], v[vgprLocalReadAddrB] offset:15104 // L -> Reg lro=1792 swapByteOffset=0 ti=16 vIdx=6 rIdx=0 oIdx=0 buffer=4 iui=0
_ds_load_b64 v[vgprValuB_X5_I0+0:vgprValuB_X5_I0+0+1], v[vgprLocalReadAddrB] offset:15232 // L -> Reg lro=1904 swapByteOffset=0 ti=16 vIdx=0 rIdx=0 oIdx=0 buffer=5 iui=0
v_mfma_f64_16x16x4_f64 a[64+0:71+0], v[vgprValuB_X1_I0+8+0+0:vgprValuB_X1_I0+8+0+0+1], v[vgprValuA_X0_I0+0+2+0:vgprValuA_X0_I0+0+2+0+1], a[64:71]
/*  mfmaIndex:23  */
/* localReadsVacancy: latencyLeft 5 */
_ds_load_b64 v[vgprValuB_X5_I0+2:vgprValuB_X5_I0+2+1], v[vgprLocalReadAddrB] offset:15360 // L -> Reg lro=1904 swapByteOffset=0 ti=16 vIdx=1 rIdx=0 oIdx=0 buffer=5 iui=0
_ds_load_b64 v[vgprValuB_X5_I0+4:vgprValuB_X5_I0+4+1], v[vgprLocalReadAddrB] offset:15488 // L -> Reg lro=1904 swapByteOffset=0 ti=16 vIdx=2 rIdx=0 oIdx=0 buffer=5 iui=0
v_mfma_f64_16x16x4_f64 a[72+0:79+0], v[vgprValuB_X1_I0+8+0+0:vgprValuB_X1_I0+8+0+0+1], v[vgprValuA_X0_I0+4+2+0:vgprValuA_X0_I0+4+2+0+1], a[72:79]
/*  mfmaIndex:24  */
/* localReadsVacancy: latencyLeft 5 */
_ds_load_b64 v[vgprValuB_X5_I0+6:vgprValuB_X5_I0+6+1], v[vgprLocalReadAddrB] offset:15616 // L -> Reg lro=1904 swapByteOffset=0 ti=16 vIdx=3 rIdx=0 oIdx=0 buffer=5 iui=0
	;; [unrolled: 5-line block ×3, first 2 shown]
_ds_load_b64 v[vgprValuB_X5_I0+12:vgprValuB_X5_I0+12+1], v[vgprLocalReadAddrB] offset:16000 // L -> Reg lro=1904 swapByteOffset=0 ti=16 vIdx=6 rIdx=0 oIdx=0 buffer=5 iui=0
v_mfma_f64_16x16x4_f64 a[80+0:87+0], v[vgprValuB_X1_I0+10+0+0:vgprValuB_X1_I0+10+0+0+1], v[vgprValuA_X0_I0+0+2+0:vgprValuA_X0_I0+0+2+0+1], a[80:87]
/*  mfmaIndex:26  */
/* localReadsVacancy: latencyLeft 5 */
_ds_load_b64 v[vgprValuB_X6_I0+0:vgprValuB_X6_I0+0+1], v[vgprLocalReadAddrB] offset:21504 // L -> Reg lro=2688 swapByteOffset=0 ti=16 vIdx=0 rIdx=0 oIdx=0 buffer=6 iui=0
_ds_load_b64 v[vgprValuB_X6_I0+2:vgprValuB_X6_I0+2+1], v[vgprLocalReadAddrB] offset:21632 // L -> Reg lro=2688 swapByteOffset=0 ti=16 vIdx=1 rIdx=0 oIdx=0 buffer=6 iui=0
v_mfma_f64_16x16x4_f64 a[96+0:103+0], v[vgprValuB_X1_I0+12+0+0:vgprValuB_X1_I0+12+0+0+1], v[vgprValuA_X0_I0+0+2+0:vgprValuA_X0_I0+0+2+0+1], a[96:103]
/*  mfmaIndex:27  */
/* localReadsVacancy: latencyLeft 5 */
_ds_load_b64 v[vgprValuB_X6_I0+4:vgprValuB_X6_I0+4+1], v[vgprLocalReadAddrB] offset:21760 // L -> Reg lro=2688 swapByteOffset=0 ti=16 vIdx=2 rIdx=0 oIdx=0 buffer=6 iui=0
_ds_load_b64 v[vgprValuB_X6_I0+6:vgprValuB_X6_I0+6+1], v[vgprLocalReadAddrB] offset:21888 // L -> Reg lro=2688 swapByteOffset=0 ti=16 vIdx=3 rIdx=0 oIdx=0 buffer=6 iui=0
v_mfma_f64_16x16x4_f64 a[104+0:111+0], v[vgprValuB_X1_I0+12+0+0:vgprValuB_X1_I0+12+0+0+1], v[vgprValuA_X0_I0+4+2+0:vgprValuA_X0_I0+4+2+0+1], a[104:111]
/* numPrefetchIter=0 */
/* dataAtIterA=-1 numReadsIterA=2 skipReadsIterA=0 readsPerIterA=2 */
/* dataAtIterB=0 numReadsIterB=2 skipReadsIterB=1 readsPerIterB=7 */


/* iter 2 */

/*  grEndMfmaIndex:4, lwStartMfmaIndex:37, lwEndMfmaIndex:101  */
/*  numMfmaForLR:8, barrierMfmaIndex:103, LocalWritePerMfma:0.220 */
/*  mfmaIndex:28  */
/* localReadsVacancy: latencyLeft 5 */
_ds_load_b64 v[vgprValuB_X6_I0+8:vgprValuB_X6_I0+8+1], v[vgprLocalReadAddrB] offset:22016 // L -> Reg lro=2688 swapByteOffset=0 ti=16 vIdx=4 rIdx=0 oIdx=0 buffer=6 iui=0
_ds_load_b64 v[vgprValuB_X6_I0+10:vgprValuB_X6_I0+10+1], v[vgprLocalReadAddrB] offset:22144 // L -> Reg lro=2688 swapByteOffset=0 ti=16 vIdx=5 rIdx=0 oIdx=0 buffer=6 iui=0
s_waitcnt lgkmcnt(15)                              // lgkmcnt=0 vmcnt=-1wait for prior local read local write old=8, new=8 newLW=0 newLR=0
v_mfma_f64_16x16x4_f64 a[0+0:7+0], v[vgprValuB_X2_I0+0+0+0:vgprValuB_X2_I0+0+0+0+1], v[vgprValuA_X2_I0+0+0+0:vgprValuA_X2_I0+0+0+0+1], a[0:7]
/*  mfmaIndex:29  */
/* localReadsVacancy: latencyLeft 5 */
_ds_load_b64 v[vgprValuB_X6_I0+12:vgprValuB_X6_I0+12+1], v[vgprLocalReadAddrB] offset:22272 // L -> Reg lro=2688 swapByteOffset=0 ti=16 vIdx=6 rIdx=0 oIdx=0 buffer=6 iui=0
_ds_load_b64 v[vgprValuB_X7_I0+0:vgprValuB_X7_I0+0+1], v[vgprLocalReadAddrB] offset:22400 // L -> Reg lro=2800 swapByteOffset=0 ti=16 vIdx=0 rIdx=0 oIdx=0 buffer=7 iui=0
v_mfma_f64_16x16x4_f64 a[8+0:15+0], v[vgprValuB_X2_I0+0+0+0:vgprValuB_X2_I0+0+0+0+1], v[vgprValuA_X2_I0+4+0+0:vgprValuA_X2_I0+4+0+0+1], a[8:15]
/*  mfmaIndex:30  */
/* localReadsVacancy: latencyLeft 5 */
_ds_load_b64 v[vgprValuB_X7_I0+2:vgprValuB_X7_I0+2+1], v[vgprLocalReadAddrB] offset:22528 // L -> Reg lro=2800 swapByteOffset=0 ti=16 vIdx=1 rIdx=0 oIdx=0 buffer=7 iui=0
_ds_load_b64 v[vgprValuB_X7_I0+4:vgprValuB_X7_I0+4+1], v[vgprLocalReadAddrB] offset:22656 // L -> Reg lro=2800 swapByteOffset=0 ti=16 vIdx=2 rIdx=0 oIdx=0 buffer=7 iui=0
v_mfma_f64_16x16x4_f64 a[24+0:31+0], v[vgprValuB_X2_I0+2+0+0:vgprValuB_X2_I0+2+0+0+1], v[vgprValuA_X2_I0+4+0+0:vgprValuA_X2_I0+4+0+0+1], a[24:31]
/*  mfmaIndex:31  */
/* localReadsVacancy: latencyLeft 5 */
_ds_load_b64 v[vgprValuB_X7_I0+6:vgprValuB_X7_I0+6+1], v[vgprLocalReadAddrB] offset:22784 // L -> Reg lro=2800 swapByteOffset=0 ti=16 vIdx=3 rIdx=0 oIdx=0 buffer=7 iui=0
_ds_load_b64 v[vgprValuB_X7_I0+8:vgprValuB_X7_I0+8+1], v[vgprLocalReadAddrB] offset:22912 // L -> Reg lro=2800 swapByteOffset=0 ti=16 vIdx=4 rIdx=0 oIdx=0 buffer=7 iui=0
v_mfma_f64_16x16x4_f64 a[16+0:23+0], v[vgprValuB_X2_I0+2+0+0:vgprValuB_X2_I0+2+0+0+1], v[vgprValuA_X2_I0+0+0+0:vgprValuA_X2_I0+0+0+0+1], a[16:23]
/*  mfmaIndex:32  */
/* localReadsVacancy: latencyLeft 5 */
_ds_load_b64 v[vgprValuB_X7_I0+10:vgprValuB_X7_I0+10+1], v[vgprLocalReadAddrB] offset:23040 // L -> Reg lro=2800 swapByteOffset=0 ti=16 vIdx=5 rIdx=0 oIdx=0 buffer=7 iui=0
_ds_load_b64 v[vgprValuB_X7_I0+12:vgprValuB_X7_I0+12+1], v[vgprLocalReadAddrB] offset:23168 // L -> Reg lro=2800 swapByteOffset=0 ti=16 vIdx=6 rIdx=0 oIdx=0 buffer=7 iui=0
v_mfma_f64_16x16x4_f64 a[32+0:39+0], v[vgprValuB_X2_I0+4+0+0:vgprValuB_X2_I0+4+0+0+1], v[vgprValuA_X2_I0+0+0+0:vgprValuA_X2_I0+0+0+0+1], a[32:39]
/*  mfmaIndex:33  */
/* localReadsVacancy: latencyLeft 5 */
v_mfma_f64_16x16x4_f64 a[40+0:47+0], v[vgprValuB_X2_I0+4+0+0:vgprValuB_X2_I0+4+0+0+1], v[vgprValuA_X2_I0+4+0+0:vgprValuA_X2_I0+4+0+0+1], a[40:47]
/*  mfmaIndex:34  */
/* localReadsVacancy: latencyLeft 5 */
	;; [unrolled: 3-line block ×4, first 2 shown]
/* 1 LDS buffer: read-sync-write */
s_waitcnt lgkmcnt(0)                               // 
s_barrier                                          // 
v_mfma_f64_16x16x4_f64 a[64+0:71+0], v[vgprValuB_X2_I0+8+0+0:vgprValuB_X2_I0+8+0+0+1], v[vgprValuA_X2_I0+0+0+0:vgprValuA_X2_I0+0+0+0+1], a[64:71]
/*  mfmaIndex:37  */
/* sched write - iter 2 writesPerItem=1 */
s_waitcnt vmcnt(0)                                 // lgkmcnt=-1 vmcnt=0wait for global read before writing to local
_ds_store_b128 v[vgprLocalWriteAddrA], v[vgprG2LA+0:vgprG2LA+0+3] offset:0 // lwoA_0_0_0_0 = (0*LSCA)*(MT0I+PAD) + (0*LSPA) = 0
v_mfma_f64_16x16x4_f64 a[72+0:79+0], v[vgprValuB_X2_I0+8+0+0:vgprValuB_X2_I0+8+0+0+1], v[vgprValuA_X2_I0+4+0+0:vgprValuA_X2_I0+4+0+0+1], a[72:79]
/*  mfmaIndex:38  */
_buffer_load_b128 v[vgprG2LA+0:vgprG2LA+0+3], v[vgprGlobalReadOffsetA+0], s[sgprSrdA:sgprSrdA+3], 0, offen offset:0 // G -> Reg 0_0_0_0
v_mfma_f64_16x16x4_f64 a[88+0:95+0], v[vgprValuB_X2_I0+10+0+0:vgprValuB_X2_I0+10+0+0+1], v[vgprValuA_X2_I0+4+0+0:vgprValuA_X2_I0+4+0+0+1], a[88:95]
/*  mfmaIndex:39  */
v_mfma_f64_16x16x4_f64 a[80+0:87+0], v[vgprValuB_X2_I0+10+0+0:vgprValuB_X2_I0+10+0+0+1], v[vgprValuA_X2_I0+0+0+0:vgprValuA_X2_I0+0+0+0+1], a[80:87]
/*  mfmaIndex:40  */
	;; [unrolled: 2-line block ×3, first 2 shown]
/* sched write - iter 2 writesPerItem=1 */
s_waitcnt vmcnt(0)                                 // lgkmcnt=-1 vmcnt=0wait for global read before writing to local
_ds_store_b128 v[vgprLocalWriteAddrA], v[vgprG2LA+4:vgprG2LA+4+3] offset:4352 // lwoA_0_0_1_0 = (0*LSCA)*(MT0I+PAD) + (1*LSPA) = 4352
v_mfma_f64_16x16x4_f64 a[104+0:111+0], v[vgprValuB_X2_I0+12+0+0:vgprValuB_X2_I0+12+0+0+1], v[vgprValuA_X2_I0+4+0+0:vgprValuA_X2_I0+4+0+0+1], a[104:111]
/* numPrefetchIter=0 */
/* dataAtIterA=0 numReadsIterA=3 skipReadsIterA=0 readsPerIterA=2 */
/* dataAtIterB=1 numReadsIterB=3 skipReadsIterB=1 readsPerIterB=7 */


/* iter 3 */

/*  grEndMfmaIndex:4, lwStartMfmaIndex:37, lwEndMfmaIndex:101  */
/*  numMfmaForLR:8, barrierMfmaIndex:103, LocalWritePerMfma:0.220 */
/*  mfmaIndex:42  */
_buffer_load_b128 v[vgprG2LA+4:vgprG2LA+4+3], v[vgprGlobalReadOffsetA+0], s[sgprSrdA:sgprSrdA+3], s[sgprScalarGlobalReadOffsetA+0], offen offset:0 // G -> Reg 0_0_1_0
v_mfma_f64_16x16x4_f64 a[0+0:7+0], v[vgprValuB_X3_I0+0+0+0:vgprValuB_X3_I0+0+0+0+1], v[vgprValuA_X2_I0+0+2+0:vgprValuA_X2_I0+0+2+0+1], a[0:7]
/*  mfmaIndex:43  */
v_mfma_f64_16x16x4_f64 a[8+0:15+0], v[vgprValuB_X3_I0+0+0+0:vgprValuB_X3_I0+0+0+0+1], v[vgprValuA_X2_I0+4+2+0:vgprValuA_X2_I0+4+2+0+1], a[8:15]
/*  mfmaIndex:44  */
	;; [unrolled: 2-line block ×4, first 2 shown]
/* sched write - iter 3 writesPerItem=1 */
s_waitcnt vmcnt(0)                                 // lgkmcnt=-1 vmcnt=0wait for global read before writing to local
_ds_store_b128 v[vgprLocalWriteAddrA], v[vgprG2LA+8:vgprG2LA+8+3] offset:8704 // lwoA_0_0_2_0 = (0*LSCA)*(MT0I+PAD) + (2*LSPA) = 8704
v_mfma_f64_16x16x4_f64 a[32+0:39+0], v[vgprValuB_X3_I0+4+0+0:vgprValuB_X3_I0+4+0+0+1], v[vgprValuA_X2_I0+0+2+0:vgprValuA_X2_I0+0+2+0+1], a[32:39]
/*  mfmaIndex:47  */
_buffer_load_b128 v[vgprG2LA+8:vgprG2LA+8+3], v[vgprGlobalReadOffsetA+0], s[sgprSrdA:sgprSrdA+3], s[sgprScalarGlobalReadOffsetA+1], offen offset:0 // G -> Reg 0_0_2_0
v_mfma_f64_16x16x4_f64 a[40+0:47+0], v[vgprValuB_X3_I0+4+0+0:vgprValuB_X3_I0+4+0+0+1], v[vgprValuA_X2_I0+4+2+0:vgprValuA_X2_I0+4+2+0+1], a[40:47]
/*  mfmaIndex:48  */
v_mfma_f64_16x16x4_f64 a[56+0:63+0], v[vgprValuB_X3_I0+6+0+0:vgprValuB_X3_I0+6+0+0+1], v[vgprValuA_X2_I0+4+2+0:vgprValuA_X2_I0+4+2+0+1], a[56:63]
/*  mfmaIndex:49  */
	;; [unrolled: 2-line block ×3, first 2 shown]
/* sched write - iter 3 writesPerItem=1 */
s_waitcnt vmcnt(0)                                 // lgkmcnt=-1 vmcnt=0wait for global read before writing to local
_ds_store_b128 v[vgprLocalWriteAddrA], v[vgprG2LA+12:vgprG2LA+12+3] offset:13056 // lwoA_0_0_3_0 = (0*LSCA)*(MT0I+PAD) + (3*LSPA) = 13056
v_mfma_f64_16x16x4_f64 a[64+0:71+0], v[vgprValuB_X3_I0+8+0+0:vgprValuB_X3_I0+8+0+0+1], v[vgprValuA_X2_I0+0+2+0:vgprValuA_X2_I0+0+2+0+1], a[64:71]
/*  mfmaIndex:51  */
_buffer_load_b128 v[vgprG2LA+12:vgprG2LA+12+3], v[vgprGlobalReadOffsetA+0], s[sgprSrdA:sgprSrdA+3], s[sgprScalarGlobalReadOffsetA+2], offen offset:0 // G -> Reg 0_0_3_0
v_mfma_f64_16x16x4_f64 a[72+0:79+0], v[vgprValuB_X3_I0+8+0+0:vgprValuB_X3_I0+8+0+0+1], v[vgprValuA_X2_I0+4+2+0:vgprValuA_X2_I0+4+2+0+1], a[72:79]
/*  mfmaIndex:52  */
v_mfma_f64_16x16x4_f64 a[88+0:95+0], v[vgprValuB_X3_I0+10+0+0:vgprValuB_X3_I0+10+0+0+1], v[vgprValuA_X2_I0+4+2+0:vgprValuA_X2_I0+4+2+0+1], a[88:95]
/*  mfmaIndex:53  */
	;; [unrolled: 2-line block ×4, first 2 shown]
/* sched write - iter 3 writesPerItem=1 */
s_waitcnt vmcnt(0)                                 // lgkmcnt=-1 vmcnt=0wait for global read before writing to local
_ds_store_b128 v[vgprLocalWriteAddrA], v[vgprG2LA+16:vgprG2LA+16+3] offset:17408 // lwoA_0_0_4_0 = (0*LSCA)*(MT0I+PAD) + (4*LSPA) = 17408
v_mfma_f64_16x16x4_f64 a[104+0:111+0], v[vgprValuB_X3_I0+12+0+0:vgprValuB_X3_I0+12+0+0+1], v[vgprValuA_X2_I0+4+2+0:vgprValuA_X2_I0+4+2+0+1], a[104:111]


/* iter 4 */

/*  grEndMfmaIndex:4, lwStartMfmaIndex:37, lwEndMfmaIndex:101  */
/*  numMfmaForLR:8, barrierMfmaIndex:103, LocalWritePerMfma:0.220 */
/*  mfmaIndex:56  */
_buffer_load_b128 v[vgprG2LA+16:vgprG2LA+16+3], v[vgprGlobalReadOffsetA+0], s[sgprSrdA:sgprSrdA+3], s[sgprScalarGlobalReadOffsetA+3], offen offset:0 // G -> Reg 0_0_4_0
v_mfma_f64_16x16x4_f64 a[0+0:7+0], v[vgprValuB_X4_I0+0+0+0:vgprValuB_X4_I0+0+0+0+1], v[vgprValuA_X4_I0+0+0+0:vgprValuA_X4_I0+0+0+0+1], a[0:7]
/*  mfmaIndex:57  */
v_mfma_f64_16x16x4_f64 a[8+0:15+0], v[vgprValuB_X4_I0+0+0+0:vgprValuB_X4_I0+0+0+0+1], v[vgprValuA_X4_I0+4+0+0:vgprValuA_X4_I0+4+0+0+1], a[8:15]
/*  mfmaIndex:58  */
	;; [unrolled: 2-line block ×3, first 2 shown]
/* sched write - iter 4 writesPerItem=1 */
s_waitcnt vmcnt(0)                                 // lgkmcnt=-1 vmcnt=0wait for global read before writing to local
_ds_store_b128 v[vgprLocalWriteAddrA], v[vgprG2LA+20:vgprG2LA+20+3] offset:21760 // lwoA_0_0_5_0 = (0*LSCA)*(MT0I+PAD) + (5*LSPA) = 21760
v_mfma_f64_16x16x4_f64 a[16+0:23+0], v[vgprValuB_X4_I0+2+0+0:vgprValuB_X4_I0+2+0+0+1], v[vgprValuA_X4_I0+0+0+0:vgprValuA_X4_I0+0+0+0+1], a[16:23]
/*  mfmaIndex:60  */
_buffer_load_b128 v[vgprG2LA+20:vgprG2LA+20+3], v[vgprGlobalReadOffsetA+0], s[sgprSrdA:sgprSrdA+3], s[sgprScalarGlobalReadOffsetA+4], offen offset:0 // G -> Reg 0_0_5_0
v_mfma_f64_16x16x4_f64 a[32+0:39+0], v[vgprValuB_X4_I0+4+0+0:vgprValuB_X4_I0+4+0+0+1], v[vgprValuA_X4_I0+0+0+0:vgprValuA_X4_I0+0+0+0+1], a[32:39]
/*  mfmaIndex:61  */
v_mfma_f64_16x16x4_f64 a[40+0:47+0], v[vgprValuB_X4_I0+4+0+0:vgprValuB_X4_I0+4+0+0+1], v[vgprValuA_X4_I0+4+0+0:vgprValuA_X4_I0+4+0+0+1], a[40:47]
/*  mfmaIndex:62  */
	;; [unrolled: 2-line block ×4, first 2 shown]
/* sched write - iter 4 writesPerItem=1 */
s_waitcnt vmcnt(0)                                 // lgkmcnt=-1 vmcnt=0wait for global read before writing to local
_ds_store_b128 v[vgprLocalWriteAddrA], v[vgprG2LA+24:vgprG2LA+24+3] offset:26112 // lwoA_0_0_6_0 = (0*LSCA)*(MT0I+PAD) + (6*LSPA) = 26112
v_mfma_f64_16x16x4_f64 a[64+0:71+0], v[vgprValuB_X4_I0+8+0+0:vgprValuB_X4_I0+8+0+0+1], v[vgprValuA_X4_I0+0+0+0:vgprValuA_X4_I0+0+0+0+1], a[64:71]
/*  mfmaIndex:65  */
_buffer_load_b128 v[vgprG2LA+24:vgprG2LA+24+3], v[vgprGlobalReadOffsetA+0], s[sgprSrdA:sgprSrdA+3], s[sgprScalarGlobalReadOffsetA+5], offen offset:0 // G -> Reg 0_0_6_0
v_mfma_f64_16x16x4_f64 a[72+0:79+0], v[vgprValuB_X4_I0+8+0+0:vgprValuB_X4_I0+8+0+0+1], v[vgprValuA_X4_I0+4+0+0:vgprValuA_X4_I0+4+0+0+1], a[72:79]
/*  mfmaIndex:66  */
v_mfma_f64_16x16x4_f64 a[88+0:95+0], v[vgprValuB_X4_I0+10+0+0:vgprValuB_X4_I0+10+0+0+1], v[vgprValuA_X4_I0+4+0+0:vgprValuA_X4_I0+4+0+0+1], a[88:95]
/*  mfmaIndex:67  */
	;; [unrolled: 2-line block ×3, first 2 shown]
/* sched write - iter 4 writesPerItem=1 */
s_waitcnt vmcnt(0)                                 // lgkmcnt=-1 vmcnt=0wait for global read before writing to local
_ds_store_b128 v[vgprLocalWriteAddrA], v[vgprG2LA+28:vgprG2LA+28+3] offset:30464 // lwoA_0_0_7_0 = (0*LSCA)*(MT0I+PAD) + (7*LSPA) = 30464
v_mfma_f64_16x16x4_f64 a[96+0:103+0], v[vgprValuB_X4_I0+12+0+0:vgprValuB_X4_I0+12+0+0+1], v[vgprValuA_X4_I0+0+0+0:vgprValuA_X4_I0+0+0+0+1], a[96:103]
/*  mfmaIndex:69  */
_buffer_load_b128 v[vgprG2LA+28:vgprG2LA+28+3], v[vgprGlobalReadOffsetA+0], s[sgprSrdA:sgprSrdA+3], s[sgprScalarGlobalReadOffsetA+6], offen offset:0 // G -> Reg 0_0_7_0
v_mfma_f64_16x16x4_f64 a[104+0:111+0], v[vgprValuB_X4_I0+12+0+0:vgprValuB_X4_I0+12+0+0+1], v[vgprValuA_X4_I0+4+0+0:vgprValuA_X4_I0+4+0+0+1], a[104:111]


/* iter 5 */

/*  grEndMfmaIndex:4, lwStartMfmaIndex:37, lwEndMfmaIndex:101  */
/*  numMfmaForLR:8, barrierMfmaIndex:103, LocalWritePerMfma:0.220 */
/*  mfmaIndex:70  */
v_mfma_f64_16x16x4_f64 a[0+0:7+0], v[vgprValuB_X5_I0+0+0+0:vgprValuB_X5_I0+0+0+0+1], v[vgprValuA_X4_I0+0+2+0:vgprValuA_X4_I0+0+2+0+1], a[0:7]
/*  mfmaIndex:71  */
v_mfma_f64_16x16x4_f64 a[8+0:15+0], v[vgprValuB_X5_I0+0+0+0:vgprValuB_X5_I0+0+0+0+1], v[vgprValuA_X4_I0+4+2+0:vgprValuA_X4_I0+4+2+0+1], a[8:15]
	;; [unrolled: 2-line block ×3, first 2 shown]
/*  mfmaIndex:73  */
/* sched write - iter 5 writesPerItem=1 */
s_waitcnt vmcnt(0)                                 // lgkmcnt=-1 vmcnt=0wait for global read before writing to local
_ds_store_b128 v[vgprLocalWriteAddrB], v[vgprG2LB+0:vgprG2LB+0+3] offset:0 // lwoB_0_0_0_0 = (0*LSCB) + (0*LSPB)(*MT1J+PAD) = 0
v_mfma_f64_16x16x4_f64 a[16+0:23+0], v[vgprValuB_X5_I0+2+0+0:vgprValuB_X5_I0+2+0+0+1], v[vgprValuA_X4_I0+0+2+0:vgprValuA_X4_I0+0+2+0+1], a[16:23]
/*  mfmaIndex:74  */
_buffer_load_b128 v[vgprG2LB+0:vgprG2LB+0+3], v[vgprGlobalReadOffsetB+0], s[sgprSrdB:sgprSrdB+3], 0, offen offset:0 // G -> Reg 0_0_0_0
v_mfma_f64_16x16x4_f64 a[32+0:39+0], v[vgprValuB_X5_I0+4+0+0:vgprValuB_X5_I0+4+0+0+1], v[vgprValuA_X4_I0+0+2+0:vgprValuA_X4_I0+0+2+0+1], a[32:39]
/*  mfmaIndex:75  */
v_mfma_f64_16x16x4_f64 a[40+0:47+0], v[vgprValuB_X5_I0+4+0+0:vgprValuB_X5_I0+4+0+0+1], v[vgprValuA_X4_I0+4+2+0:vgprValuA_X4_I0+4+2+0+1], a[40:47]
/*  mfmaIndex:76  */
	;; [unrolled: 2-line block ×3, first 2 shown]
/* sched write - iter 5 writesPerItem=1 */
s_waitcnt vmcnt(0)                                 // lgkmcnt=-1 vmcnt=0wait for global read before writing to local
_ds_store_b128 v[vgprLocalWriteAddrB], v[vgprG2LB+4:vgprG2LB+4+3] offset:128 // lwoB_1_0_0_0 = (1*LSCB) + (0*LSPB)(*MT1J+PAD) = 128
v_mfma_f64_16x16x4_f64 a[48+0:55+0], v[vgprValuB_X5_I0+6+0+0:vgprValuB_X5_I0+6+0+0+1], v[vgprValuA_X4_I0+0+2+0:vgprValuA_X4_I0+0+2+0+1], a[48:55]
/*  mfmaIndex:78  */
_buffer_load_b128 v[vgprG2LB+4:vgprG2LB+4+3], v[vgprGlobalReadOffsetB+0], s[sgprSrdB:sgprSrdB+3], s[sgprScalarGlobalReadOffsetB+0], offen offset:0 // G -> Reg 1_0_0_0
v_mfma_f64_16x16x4_f64 a[64+0:71+0], v[vgprValuB_X5_I0+8+0+0:vgprValuB_X5_I0+8+0+0+1], v[vgprValuA_X4_I0+0+2+0:vgprValuA_X4_I0+0+2+0+1], a[64:71]
/*  mfmaIndex:79  */
v_mfma_f64_16x16x4_f64 a[72+0:79+0], v[vgprValuB_X5_I0+8+0+0:vgprValuB_X5_I0+8+0+0+1], v[vgprValuA_X4_I0+4+2+0:vgprValuA_X4_I0+4+2+0+1], a[72:79]
/*  mfmaIndex:80  */
	;; [unrolled: 2-line block ×4, first 2 shown]
/* sched write - iter 5 writesPerItem=1 */
s_waitcnt vmcnt(0)                                 // lgkmcnt=-1 vmcnt=0wait for global read before writing to local
_ds_store_b128 v[vgprLocalWriteAddrB], v[vgprG2LB+8:vgprG2LB+8+3] offset:256 // lwoB_2_0_0_0 = (2*LSCB) + (0*LSPB)(*MT1J+PAD) = 256
v_mfma_f64_16x16x4_f64 a[96+0:103+0], v[vgprValuB_X5_I0+12+0+0:vgprValuB_X5_I0+12+0+0+1], v[vgprValuA_X4_I0+0+2+0:vgprValuA_X4_I0+0+2+0+1], a[96:103]
/*  mfmaIndex:83  */
_buffer_load_b128 v[vgprG2LB+8:vgprG2LB+8+3], v[vgprGlobalReadOffsetB+0], s[sgprSrdB:sgprSrdB+3], s[sgprScalarGlobalReadOffsetB+1], offen offset:0 // G -> Reg 2_0_0_0
v_mfma_f64_16x16x4_f64 a[104+0:111+0], v[vgprValuB_X5_I0+12+0+0:vgprValuB_X5_I0+12+0+0+1], v[vgprValuA_X4_I0+4+2+0:vgprValuA_X4_I0+4+2+0+1], a[104:111]


/* iter 6 (reset local read pointers iteration)  (swap local read pointers iteration)  */

/*  grEndMfmaIndex:4, lwStartMfmaIndex:37, lwEndMfmaIndex:101  */
/*  numMfmaForLR:8, barrierMfmaIndex:103, LocalWritePerMfma:0.220 */
/*  mfmaIndex:84  */
v_mfma_f64_16x16x4_f64 a[0+0:7+0], v[vgprValuB_X6_I0+0+0+0:vgprValuB_X6_I0+0+0+0+1], v[vgprValuA_X6_I0+0+0+0:vgprValuA_X6_I0+0+0+0+1], a[0:7]
/*  mfmaIndex:85  */
v_mfma_f64_16x16x4_f64 a[8+0:15+0], v[vgprValuB_X6_I0+0+0+0:vgprValuB_X6_I0+0+0+0+1], v[vgprValuA_X6_I0+4+0+0:vgprValuA_X6_I0+4+0+0+1], a[8:15]
/*  mfmaIndex:86  */
v_mfma_f64_16x16x4_f64 a[24+0:31+0], v[vgprValuB_X6_I0+2+0+0:vgprValuB_X6_I0+2+0+0+1], v[vgprValuA_X6_I0+4+0+0:vgprValuA_X6_I0+4+0+0+1], a[24:31]
/*  mfmaIndex:87  */
/* sched write - iter 6 writesPerItem=1 */
s_waitcnt vmcnt(0)                                 // lgkmcnt=-1 vmcnt=0wait for global read before writing to local
_ds_store_b128 v[vgprLocalWriteAddrB], v[vgprG2LB+12:vgprG2LB+12+3] offset:384 // lwoB_3_0_0_0 = (3*LSCB) + (0*LSPB)(*MT1J+PAD) = 384
v_mfma_f64_16x16x4_f64 a[16+0:23+0], v[vgprValuB_X6_I0+2+0+0:vgprValuB_X6_I0+2+0+0+1], v[vgprValuA_X6_I0+0+0+0:vgprValuA_X6_I0+0+0+0+1], a[16:23]
/*  mfmaIndex:88  */
_buffer_load_b128 v[vgprG2LB+12:vgprG2LB+12+3], v[vgprGlobalReadOffsetB+0], s[sgprSrdB:sgprSrdB+3], s[sgprScalarGlobalReadOffsetB+2], offen offset:0 // G -> Reg 3_0_0_0
v_mfma_f64_16x16x4_f64 a[32+0:39+0], v[vgprValuB_X6_I0+4+0+0:vgprValuB_X6_I0+4+0+0+1], v[vgprValuA_X6_I0+0+0+0:vgprValuA_X6_I0+0+0+0+1], a[32:39]
/*  mfmaIndex:89  */
v_mfma_f64_16x16x4_f64 a[40+0:47+0], v[vgprValuB_X6_I0+4+0+0:vgprValuB_X6_I0+4+0+0+1], v[vgprValuA_X6_I0+4+0+0:vgprValuA_X6_I0+4+0+0+1], a[40:47]
/*  mfmaIndex:90  */
	;; [unrolled: 2-line block ×3, first 2 shown]
/* sched write - iter 6 writesPerItem=1 */
s_waitcnt vmcnt(0)                                 // lgkmcnt=-1 vmcnt=0wait for global read before writing to local
_ds_store_b128 v[vgprLocalWriteAddrB], v[vgprG2LB+16:vgprG2LB+16+3] offset:512 // lwoB_4_0_0_0 = (4*LSCB) + (0*LSPB)(*MT1J+PAD) = 512
v_mfma_f64_16x16x4_f64 a[48+0:55+0], v[vgprValuB_X6_I0+6+0+0:vgprValuB_X6_I0+6+0+0+1], v[vgprValuA_X6_I0+0+0+0:vgprValuA_X6_I0+0+0+0+1], a[48:55]
/*  mfmaIndex:92  */
_buffer_load_b128 v[vgprG2LB+16:vgprG2LB+16+3], v[vgprGlobalReadOffsetB+0], s[sgprSrdB:sgprSrdB+3], s[sgprScalarGlobalReadOffsetB+3], offen offset:0 // G -> Reg 4_0_0_0
v_mfma_f64_16x16x4_f64 a[64+0:71+0], v[vgprValuB_X6_I0+8+0+0:vgprValuB_X6_I0+8+0+0+1], v[vgprValuA_X6_I0+0+0+0:vgprValuA_X6_I0+0+0+0+1], a[64:71]
/*  mfmaIndex:93  */
v_mfma_f64_16x16x4_f64 a[72+0:79+0], v[vgprValuB_X6_I0+8+0+0:vgprValuB_X6_I0+8+0+0+1], v[vgprValuA_X6_I0+4+0+0:vgprValuA_X6_I0+4+0+0+1], a[72:79]
/*  mfmaIndex:94  */
	;; [unrolled: 2-line block ×4, first 2 shown]
/* sched write - iter 6 writesPerItem=1 */
s_waitcnt vmcnt(0)                                 // lgkmcnt=-1 vmcnt=0wait for global read before writing to local
_ds_store_b128 v[vgprLocalWriteAddrB], v[vgprG2LB+20:vgprG2LB+20+3] offset:640 // lwoB_5_0_0_0 = (5*LSCB) + (0*LSPB)(*MT1J+PAD) = 640
v_mfma_f64_16x16x4_f64 a[96+0:103+0], v[vgprValuB_X6_I0+12+0+0:vgprValuB_X6_I0+12+0+0+1], v[vgprValuA_X6_I0+0+0+0:vgprValuA_X6_I0+0+0+0+1], a[96:103]
/*  mfmaIndex:97  */
_buffer_load_b128 v[vgprG2LB+20:vgprG2LB+20+3], v[vgprGlobalReadOffsetB+0], s[sgprSrdB:sgprSrdB+3], s[sgprScalarGlobalReadOffsetB+4], offen offset:0 // G -> Reg 5_0_0_0

/* local read swap offsets a */

/* local read swap offsets b */

/* local read init pointers a */

/* localReadInitPointers */

/* local read init pointers b */

/* localReadInitPointers */
v_mfma_f64_16x16x4_f64 a[104+0:111+0], v[vgprValuB_X6_I0+12+0+0:vgprValuB_X6_I0+12+0+0+1], v[vgprValuA_X6_I0+4+0+0:vgprValuA_X6_I0+4+0+0+1], a[104:111]


/* iter 7 (swap and reset local write pointers iteration)  */

/*  grEndMfmaIndex:4, lwStartMfmaIndex:37, lwEndMfmaIndex:101  */
/*  numMfmaForLR:8, barrierMfmaIndex:103, LocalWritePerMfma:0.220 */
/*  mfmaIndex:98  */
v_mfma_f64_16x16x4_f64 a[0+0:7+0], v[vgprValuB_X7_I0+0+0+0:vgprValuB_X7_I0+0+0+0+1], v[vgprValuA_X6_I0+0+2+0:vgprValuA_X6_I0+0+2+0+1], a[0:7]
/*  mfmaIndex:99  */
v_mfma_f64_16x16x4_f64 a[8+0:15+0], v[vgprValuB_X7_I0+0+0+0:vgprValuB_X7_I0+0+0+0+1], v[vgprValuA_X6_I0+4+2+0:vgprValuA_X6_I0+4+2+0+1], a[8:15]
/*  mfmaIndex:100  */
/* sched write - iter 7 writesPerItem=1 */
s_waitcnt vmcnt(0)                                 // lgkmcnt=-1 vmcnt=0wait for global read before writing to local
_ds_store_b128 v[vgprLocalWriteAddrB], v[vgprG2LB+24:vgprG2LB+24+3] offset:768 // lwoB_6_0_0_0 = (6*LSCB) + (0*LSPB)(*MT1J+PAD) = 768
v_mfma_f64_16x16x4_f64 a[24+0:31+0], v[vgprValuB_X7_I0+2+0+0:vgprValuB_X7_I0+2+0+0+1], v[vgprValuA_X6_I0+4+2+0:vgprValuA_X6_I0+4+2+0+1], a[24:31]
/*  mfmaIndex:101  */
_buffer_load_b128 v[vgprG2LB+24:vgprG2LB+24+3], v[vgprGlobalReadOffsetB+0], s[sgprSrdB:sgprSrdB+3], s[sgprScalarGlobalReadOffsetB+5], offen offset:0 // G -> Reg 6_0_0_0

/* local write swap offsets a */

/* local write swap offsets b */
v_mfma_f64_16x16x4_f64 a[16+0:23+0], v[vgprValuB_X7_I0+2+0+0:vgprValuB_X7_I0+2+0+0+1], v[vgprValuA_X6_I0+0+2+0:vgprValuA_X6_I0+0+2+0+1], a[16:23]
/*  mfmaIndex:102  */
v_mfma_f64_16x16x4_f64 a[32+0:39+0], v[vgprValuB_X7_I0+4+0+0:vgprValuB_X7_I0+4+0+0+1], v[vgprValuA_X6_I0+0+2+0:vgprValuA_X6_I0+0+2+0+1], a[32:39]
/*  mfmaIndex:103  */
s_waitcnt lgkmcnt(0)                               // lgkmcnt=0 vmcnt=-13wait for local write
// Skip force waitcnt0
s_barrier //
v_mfma_f64_16x16x4_f64 a[40+0:47+0], v[vgprValuB_X7_I0+4+0+0:vgprValuB_X7_I0+4+0+0+1], v[vgprValuA_X6_I0+4+2+0:vgprValuA_X6_I0+4+2+0+1], a[40:47]
/*  mfmaIndex:104  */
_ds_load_b128 v[vgprValuA_X0_I0+0:vgprValuA_X0_I0+0+3], v[vgprLocalReadAddrA] offset:0 // L -> Reg lro=0 swapByteOffset=0 ti=128 vIdx=0 rIdx=0 oIdx=0 buffer=0 iui=0
v_mfma_f64_16x16x4_f64 a[56+0:63+0], v[vgprValuB_X7_I0+6+0+0:vgprValuB_X7_I0+6+0+0+1], v[vgprValuA_X6_I0+4+2+0:vgprValuA_X6_I0+4+2+0+1], a[56:63]
/*  mfmaIndex:105  */
_ds_load_b64 v[vgprValuB_X0_I0+0:vgprValuB_X0_I0+0+1], v[vgprLocalReadAddrB] offset:0 // L -> Reg lro=0 swapByteOffset=0 ti=16 vIdx=0 rIdx=0 oIdx=0 buffer=0 iui=0
v_mfma_f64_16x16x4_f64 a[48+0:55+0], v[vgprValuB_X7_I0+6+0+0:vgprValuB_X7_I0+6+0+0+1], v[vgprValuA_X6_I0+0+2+0:vgprValuA_X6_I0+0+2+0+1], a[48:55]
/*  mfmaIndex:106  */
_ds_load_b128 v[vgprValuA_X0_I0+4:vgprValuA_X0_I0+4+3], v[vgprLocalReadAddrA] offset:256 // L -> Reg lro=0 swapByteOffset=0 ti=128 vIdx=0 rIdx=0 oIdx=0 buffer=0 iui=0
v_mfma_f64_16x16x4_f64 a[64+0:71+0], v[vgprValuB_X7_I0+8+0+0:vgprValuB_X7_I0+8+0+0+1], v[vgprValuA_X6_I0+0+2+0:vgprValuA_X6_I0+0+2+0+1], a[64:71]
/*  mfmaIndex:107  */
_ds_load_b64 v[vgprValuB_X0_I0+2:vgprValuB_X0_I0+2+1], v[vgprLocalReadAddrB] offset:128 // L -> Reg lro=0 swapByteOffset=0 ti=16 vIdx=1 rIdx=0 oIdx=0 buffer=0 iui=0
_ds_load_b64 v[vgprValuB_X0_I0+4:vgprValuB_X0_I0+4+1], v[vgprLocalReadAddrB] offset:256 // L -> Reg lro=0 swapByteOffset=0 ti=16 vIdx=2 rIdx=0 oIdx=0 buffer=0 iui=0
v_mfma_f64_16x16x4_f64 a[72+0:79+0], v[vgprValuB_X7_I0+8+0+0:vgprValuB_X7_I0+8+0+0+1], v[vgprValuA_X6_I0+4+2+0:vgprValuA_X6_I0+4+2+0+1], a[72:79]
/*  mfmaIndex:108  */
_ds_load_b64 v[vgprValuB_X0_I0+6:vgprValuB_X0_I0+6+1], v[vgprLocalReadAddrB] offset:384 // L -> Reg lro=0 swapByteOffset=0 ti=16 vIdx=3 rIdx=0 oIdx=0 buffer=0 iui=0
_ds_load_b64 v[vgprValuB_X0_I0+8:vgprValuB_X0_I0+8+1], v[vgprLocalReadAddrB] offset:512 // L -> Reg lro=0 swapByteOffset=0 ti=16 vIdx=4 rIdx=0 oIdx=0 buffer=0 iui=0
	;; [unrolled: 4-line block ×3, first 2 shown]
v_mfma_f64_16x16x4_f64 a[80+0:87+0], v[vgprValuB_X7_I0+10+0+0:vgprValuB_X7_I0+10+0+0+1], v[vgprValuA_X6_I0+0+2+0:vgprValuA_X6_I0+0+2+0+1], a[80:87]
/*  mfmaIndex:110  */
v_mfma_f64_16x16x4_f64 a[96+0:103+0], v[vgprValuB_X7_I0+12+0+0:vgprValuB_X7_I0+12+0+0+1], v[vgprValuA_X6_I0+0+2+0:vgprValuA_X6_I0+0+2+0+1], a[96:103]
/*  mfmaIndex:111  */
v_mfma_f64_16x16x4_f64 a[104+0:111+0], v[vgprValuB_X7_I0+12+0+0:vgprValuB_X7_I0+12+0+0+1], v[vgprValuA_X6_I0+4+2+0:vgprValuA_X6_I0+4+2+0+1], a[104:111]


/******************************************/
/* Unrolled Loop - End 1/2                */
/******************************************/


/* closeLoop loopL finalLoop=0 tailLoop=0 */
s_sub_u32 s[sgprLoopCounterL], s[sgprLoopCounterL], 1 // dec counterL
s_cmp_eq_i32 s[sgprLoopCounterL], 0x2              // counterL==2
s_cbranch_scc1 LoopEndL_oddexit_3                  // exit LoopL


/******************************************/
/* Unrolled Loop 2/2 - Begin              */
/******************************************/

label_0016: // LoopCopy2 


/* Begin Each Unroll: Check VGPR.checkin for INT8 LW */


	;; [unrolled: 1-line block ×3, first 2 shown]
/* iter 0 */

/*  grEndMfmaIndex:4, lwStartMfmaIndex:37, lwEndMfmaIndex:101  */
/*  numMfmaForLR:8, barrierMfmaIndex:103, LocalWritePerMfma:0.220 */
/*  mfmaIndex:0  */
s_waitcnt lgkmcnt(0)                               // lgkmcnt=0 vmcnt=-1wait for prior local read local write old=0, new=0 newLW=0 newLR=0
v_mfma_f64_16x16x4_f64 a[0+0:7+0], v[vgprValuB_X0_I0+0+0+0:vgprValuB_X0_I0+0+0+0+1], v[vgprValuA_X0_I0+0+0+0:vgprValuA_X0_I0+0+0+0+1], a[0:7]
/*  mfmaIndex:1  */
_ds_load_b128 v[vgprValuA_X2_I0+0:vgprValuA_X2_I0+0+3], v[vgprLocalReadAddrA] offset:64 // L -> Reg lro=8 swapByteOffset=0 ti=128 vIdx=0 rIdx=0 oIdx=0 buffer=2 iui=0

/* global read inc A loopL */
s_add_u32 s[sgprSrdA+0], s[sgprSrdA+0], s[sgprGlobalReadIncsA+0] // gra SRD += inc(lower)
s_addc_u32  s[sgprSrdA+1], s[sgprSrdA+1], 0        // gra SRD += inc(upper)
s_sub_u32 s[sgprShadowLimitA+0], s[sgprShadowLimitA+0], s[sgprGlobalReadIncsA+0] // limit -= inc)
v_mfma_f64_16x16x4_f64 a[8+0:15+0], v[vgprValuB_X0_I0+0+0+0:vgprValuB_X0_I0+0+0+0+1], v[vgprValuA_X0_I0+4+0+0:vgprValuA_X0_I0+4+0+0+1], a[8:15]
/*  mfmaIndex:2  */
_ds_load_b64 v[vgprValuB_X1_I0+0:vgprValuB_X1_I0+0+1], v[vgprLocalReadAddrB] offset:896 // L -> Reg lro=112 swapByteOffset=0 ti=16 vIdx=0 rIdx=0 oIdx=0 buffer=1 iui=0
s_subb_u32 s[sgprShadowLimitA+1], s[sgprShadowLimitA+1], 0 // limit -= inc)
s_cmp_eq_u32 s[sgprShadowLimitA+1], 0              // are we within 2^32?
s_cmov_b32 s[sgprSrdA+2], s[sgprShadowLimitA+0]    // Move shadow to real if we are within 2^32
v_mfma_f64_16x16x4_f64 a[24+0:31+0], v[vgprValuB_X0_I0+2+0+0:vgprValuB_X0_I0+2+0+0+1], v[vgprValuA_X0_I0+4+0+0:vgprValuA_X0_I0+4+0+0+1], a[24:31]
/*  mfmaIndex:3  */
_ds_load_b128 v[vgprValuA_X2_I0+4:vgprValuA_X2_I0+4+3], v[vgprLocalReadAddrA] offset:320 // L -> Reg lro=8 swapByteOffset=0 ti=128 vIdx=0 rIdx=0 oIdx=0 buffer=2 iui=0

/* global read inc B loopL */
s_add_u32 s[sgprSrdB+0], s[sgprSrdB+0], s[sgprGlobalReadIncsB+0] // gra SRD += inc(lower)
s_addc_u32  s[sgprSrdB+1], s[sgprSrdB+1], 0        // gra SRD += inc(upper)
s_sub_u32 s[sgprShadowLimitB+0], s[sgprShadowLimitB+0], s[sgprGlobalReadIncsB+0] // limit -= inc)
v_mfma_f64_16x16x4_f64 a[16+0:23+0], v[vgprValuB_X0_I0+2+0+0:vgprValuB_X0_I0+2+0+0+1], v[vgprValuA_X0_I0+0+0+0:vgprValuA_X0_I0+0+0+0+1], a[16:23]
/*  mfmaIndex:4  */
_ds_load_b64 v[vgprValuB_X1_I0+2:vgprValuB_X1_I0+2+1], v[vgprLocalReadAddrB] offset:1024 // L -> Reg lro=112 swapByteOffset=0 ti=16 vIdx=1 rIdx=0 oIdx=0 buffer=1 iui=0
_ds_load_b64 v[vgprValuB_X1_I0+4:vgprValuB_X1_I0+4+1], v[vgprLocalReadAddrB] offset:1152 // L -> Reg lro=112 swapByteOffset=0 ti=16 vIdx=2 rIdx=0 oIdx=0 buffer=1 iui=0
s_subb_u32 s[sgprShadowLimitB+1], s[sgprShadowLimitB+1], 0 // limit -= inc)
s_cmp_eq_u32 s[sgprShadowLimitB+1], 0              // are we within 2^32?
s_cmov_b32 s[sgprSrdB+2], s[sgprShadowLimitB+0]    // Move shadow to real if we are within 2^32
v_mfma_f64_16x16x4_f64 a[32+0:39+0], v[vgprValuB_X0_I0+4+0+0:vgprValuB_X0_I0+4+0+0+1], v[vgprValuA_X0_I0+0+0+0:vgprValuA_X0_I0+0+0+0+1], a[32:39]
/*  mfmaIndex:5  */
_ds_load_b64 v[vgprValuB_X1_I0+6:vgprValuB_X1_I0+6+1], v[vgprLocalReadAddrB] offset:1280 // L -> Reg lro=112 swapByteOffset=0 ti=16 vIdx=3 rIdx=0 oIdx=0 buffer=1 iui=0
_ds_load_b64 v[vgprValuB_X1_I0+8:vgprValuB_X1_I0+8+1], v[vgprLocalReadAddrB] offset:1408 // L -> Reg lro=112 swapByteOffset=0 ti=16 vIdx=4 rIdx=0 oIdx=0 buffer=1 iui=0
v_mfma_f64_16x16x4_f64 a[40+0:47+0], v[vgprValuB_X0_I0+4+0+0:vgprValuB_X0_I0+4+0+0+1], v[vgprValuA_X0_I0+4+0+0:vgprValuA_X0_I0+4+0+0+1], a[40:47]
/*  mfmaIndex:6  */
_ds_load_b64 v[vgprValuB_X1_I0+10:vgprValuB_X1_I0+10+1], v[vgprLocalReadAddrB] offset:1536 // L -> Reg lro=112 swapByteOffset=0 ti=16 vIdx=5 rIdx=0 oIdx=0 buffer=1 iui=0
_ds_load_b64 v[vgprValuB_X1_I0+12:vgprValuB_X1_I0+12+1], v[vgprLocalReadAddrB] offset:1664 // L -> Reg lro=112 swapByteOffset=0 ti=16 vIdx=6 rIdx=0 oIdx=0 buffer=1 iui=0
/* localReadsVacancy: latencyLeft 1 */
v_mfma_f64_16x16x4_f64 a[56+0:63+0], v[vgprValuB_X0_I0+6+0+0:vgprValuB_X0_I0+6+0+0+1], v[vgprValuA_X0_I0+4+0+0:vgprValuA_X0_I0+4+0+0+1], a[56:63]
/*  mfmaIndex:7  */
/* localReadsVacancy: latencyLeft 5 */
_ds_load_b128 v[vgprValuA_X4_I0+0:vgprValuA_X4_I0+0+3], v[vgprLocalReadAddrA] offset:128 // L -> Reg lro=16 swapByteOffset=0 ti=128 vIdx=0 rIdx=0 oIdx=0 buffer=4 iui=0
v_mfma_f64_16x16x4_f64 a[48+0:55+0], v[vgprValuB_X0_I0+6+0+0:vgprValuB_X0_I0+6+0+0+1], v[vgprValuA_X0_I0+0+0+0:vgprValuA_X0_I0+0+0+0+1], a[48:55]
/*  mfmaIndex:8  */
/* localReadsVacancy: latencyLeft 5 */
_ds_load_b64 v[vgprValuB_X2_I0+0:vgprValuB_X2_I0+0+1], v[vgprLocalReadAddrB] offset:7168 // L -> Reg lro=896 swapByteOffset=0 ti=16 vIdx=0 rIdx=0 oIdx=0 buffer=2 iui=0
v_mfma_f64_16x16x4_f64 a[64+0:71+0], v[vgprValuB_X0_I0+8+0+0:vgprValuB_X0_I0+8+0+0+1], v[vgprValuA_X0_I0+0+0+0:vgprValuA_X0_I0+0+0+0+1], a[64:71]
/*  mfmaIndex:9  */
/* localReadsVacancy: latencyLeft 5 */
_ds_load_b128 v[vgprValuA_X4_I0+4:vgprValuA_X4_I0+4+3], v[vgprLocalReadAddrA] offset:384 // L -> Reg lro=16 swapByteOffset=0 ti=128 vIdx=0 rIdx=0 oIdx=0 buffer=4 iui=0
v_mfma_f64_16x16x4_f64 a[72+0:79+0], v[vgprValuB_X0_I0+8+0+0:vgprValuB_X0_I0+8+0+0+1], v[vgprValuA_X0_I0+4+0+0:vgprValuA_X0_I0+4+0+0+1], a[72:79]
/*  mfmaIndex:10  */
/* localReadsVacancy: latencyLeft 5 */
_ds_load_b64 v[vgprValuB_X2_I0+2:vgprValuB_X2_I0+2+1], v[vgprLocalReadAddrB] offset:7296 // L -> Reg lro=896 swapByteOffset=0 ti=16 vIdx=1 rIdx=0 oIdx=0 buffer=2 iui=0
_ds_load_b64 v[vgprValuB_X2_I0+4:vgprValuB_X2_I0+4+1], v[vgprLocalReadAddrB] offset:7424 // L -> Reg lro=896 swapByteOffset=0 ti=16 vIdx=2 rIdx=0 oIdx=0 buffer=2 iui=0
v_mfma_f64_16x16x4_f64 a[88+0:95+0], v[vgprValuB_X0_I0+10+0+0:vgprValuB_X0_I0+10+0+0+1], v[vgprValuA_X0_I0+4+0+0:vgprValuA_X0_I0+4+0+0+1], a[88:95]
/*  mfmaIndex:11  */
/* localReadsVacancy: latencyLeft 5 */
_ds_load_b64 v[vgprValuB_X2_I0+6:vgprValuB_X2_I0+6+1], v[vgprLocalReadAddrB] offset:7552 // L -> Reg lro=896 swapByteOffset=0 ti=16 vIdx=3 rIdx=0 oIdx=0 buffer=2 iui=0
_ds_load_b64 v[vgprValuB_X2_I0+8:vgprValuB_X2_I0+8+1], v[vgprLocalReadAddrB] offset:7680 // L -> Reg lro=896 swapByteOffset=0 ti=16 vIdx=4 rIdx=0 oIdx=0 buffer=2 iui=0
	;; [unrolled: 5-line block ×3, first 2 shown]
v_mfma_f64_16x16x4_f64 a[96+0:103+0], v[vgprValuB_X0_I0+12+0+0:vgprValuB_X0_I0+12+0+0+1], v[vgprValuA_X0_I0+0+0+0:vgprValuA_X0_I0+0+0+0+1], a[96:103]
/*  mfmaIndex:13  */
/* localReadsVacancy: latencyLeft 5 */
_ds_load_b128 v[vgprValuA_X6_I0+0:vgprValuA_X6_I0+0+3], v[vgprLocalReadAddrA] offset:192 // L -> Reg lro=24 swapByteOffset=0 ti=128 vIdx=0 rIdx=0 oIdx=0 buffer=6 iui=0
v_mfma_f64_16x16x4_f64 a[104+0:111+0], v[vgprValuB_X0_I0+12+0+0:vgprValuB_X0_I0+12+0+0+1], v[vgprValuA_X0_I0+4+0+0:vgprValuA_X0_I0+4+0+0+1], a[104:111]
/* numPrefetchIter=0 */
/* dataAtIterA=-1 numReadsIterA=1 skipReadsIterA=1 readsPerIterA=2 */
/* dataAtIterB=-1 numReadsIterB=1 skipReadsIterB=1 readsPerIterB=7 */


/* iter 1 */

/*  grEndMfmaIndex:4, lwStartMfmaIndex:37, lwEndMfmaIndex:101  */
/*  numMfmaForLR:8, barrierMfmaIndex:103, LocalWritePerMfma:0.220 */
/*  mfmaIndex:14  */
/* localReadsVacancy: latencyLeft 5 */
_ds_load_b64 v[vgprValuB_X3_I0+0:vgprValuB_X3_I0+0+1], v[vgprLocalReadAddrB] offset:8064 // L -> Reg lro=1008 swapByteOffset=0 ti=16 vIdx=0 rIdx=0 oIdx=0 buffer=3 iui=0
s_waitcnt lgkmcnt(11)                              // lgkmcnt=0 vmcnt=-1wait for prior local read local write old=9, new=9 newLW=0 newLR=0
v_mfma_f64_16x16x4_f64 a[0+0:7+0], v[vgprValuB_X1_I0+0+0+0:vgprValuB_X1_I0+0+0+0+1], v[vgprValuA_X0_I0+0+2+0:vgprValuA_X0_I0+0+2+0+1], a[0:7]
/*  mfmaIndex:15  */
/* localReadsVacancy: latencyLeft 5 */
_ds_load_b128 v[vgprValuA_X6_I0+4:vgprValuA_X6_I0+4+3], v[vgprLocalReadAddrA] offset:448 // L -> Reg lro=24 swapByteOffset=0 ti=128 vIdx=0 rIdx=0 oIdx=0 buffer=6 iui=0
v_mfma_f64_16x16x4_f64 a[8+0:15+0], v[vgprValuB_X1_I0+0+0+0:vgprValuB_X1_I0+0+0+0+1], v[vgprValuA_X0_I0+4+2+0:vgprValuA_X0_I0+4+2+0+1], a[8:15]
/*  mfmaIndex:16  */
/* localReadsVacancy: latencyLeft 5 */
_ds_load_b64 v[vgprValuB_X3_I0+2:vgprValuB_X3_I0+2+1], v[vgprLocalReadAddrB] offset:8192 // L -> Reg lro=1008 swapByteOffset=0 ti=16 vIdx=1 rIdx=0 oIdx=0 buffer=3 iui=0
_ds_load_b64 v[vgprValuB_X3_I0+4:vgprValuB_X3_I0+4+1], v[vgprLocalReadAddrB] offset:8320 // L -> Reg lro=1008 swapByteOffset=0 ti=16 vIdx=2 rIdx=0 oIdx=0 buffer=3 iui=0
v_mfma_f64_16x16x4_f64 a[24+0:31+0], v[vgprValuB_X1_I0+2+0+0:vgprValuB_X1_I0+2+0+0+1], v[vgprValuA_X0_I0+4+2+0:vgprValuA_X0_I0+4+2+0+1], a[24:31]
/*  mfmaIndex:17  */
/* localReadsVacancy: latencyLeft 5 */
_ds_load_b64 v[vgprValuB_X3_I0+6:vgprValuB_X3_I0+6+1], v[vgprLocalReadAddrB] offset:8448 // L -> Reg lro=1008 swapByteOffset=0 ti=16 vIdx=3 rIdx=0 oIdx=0 buffer=3 iui=0
_ds_load_b64 v[vgprValuB_X3_I0+8:vgprValuB_X3_I0+8+1], v[vgprLocalReadAddrB] offset:8576 // L -> Reg lro=1008 swapByteOffset=0 ti=16 vIdx=4 rIdx=0 oIdx=0 buffer=3 iui=0
	;; [unrolled: 5-line block ×3, first 2 shown]
v_mfma_f64_16x16x4_f64 a[32+0:39+0], v[vgprValuB_X1_I0+4+0+0:vgprValuB_X1_I0+4+0+0+1], v[vgprValuA_X0_I0+0+2+0:vgprValuA_X0_I0+0+2+0+1], a[32:39]
/*  mfmaIndex:19  */
/* localReadsVacancy: latencyLeft 5 */
_ds_load_b64 v[vgprValuB_X4_I0+0:vgprValuB_X4_I0+0+1], v[vgprLocalReadAddrB] offset:14336 // L -> Reg lro=1792 swapByteOffset=0 ti=16 vIdx=0 rIdx=0 oIdx=0 buffer=4 iui=0
_ds_load_b64 v[vgprValuB_X4_I0+2:vgprValuB_X4_I0+2+1], v[vgprLocalReadAddrB] offset:14464 // L -> Reg lro=1792 swapByteOffset=0 ti=16 vIdx=1 rIdx=0 oIdx=0 buffer=4 iui=0
v_mfma_f64_16x16x4_f64 a[40+0:47+0], v[vgprValuB_X1_I0+4+0+0:vgprValuB_X1_I0+4+0+0+1], v[vgprValuA_X0_I0+4+2+0:vgprValuA_X0_I0+4+2+0+1], a[40:47]
/*  mfmaIndex:20  */
/* localReadsVacancy: latencyLeft 5 */
_ds_load_b64 v[vgprValuB_X4_I0+4:vgprValuB_X4_I0+4+1], v[vgprLocalReadAddrB] offset:14592 // L -> Reg lro=1792 swapByteOffset=0 ti=16 vIdx=2 rIdx=0 oIdx=0 buffer=4 iui=0
_ds_load_b64 v[vgprValuB_X4_I0+6:vgprValuB_X4_I0+6+1], v[vgprLocalReadAddrB] offset:14720 // L -> Reg lro=1792 swapByteOffset=0 ti=16 vIdx=3 rIdx=0 oIdx=0 buffer=4 iui=0
	;; [unrolled: 5-line block ×3, first 2 shown]
v_mfma_f64_16x16x4_f64 a[48+0:55+0], v[vgprValuB_X1_I0+6+0+0:vgprValuB_X1_I0+6+0+0+1], v[vgprValuA_X0_I0+0+2+0:vgprValuA_X0_I0+0+2+0+1], a[48:55]
/*  mfmaIndex:22  */
/* localReadsVacancy: latencyLeft 5 */
_ds_load_b64 v[vgprValuB_X4_I0+12:vgprValuB_X4_I0+12+1], v[vgprLocalReadAddrB] offset:15104 // L -> Reg lro=1792 swapByteOffset=0 ti=16 vIdx=6 rIdx=0 oIdx=0 buffer=4 iui=0
_ds_load_b64 v[vgprValuB_X5_I0+0:vgprValuB_X5_I0+0+1], v[vgprLocalReadAddrB] offset:15232 // L -> Reg lro=1904 swapByteOffset=0 ti=16 vIdx=0 rIdx=0 oIdx=0 buffer=5 iui=0
v_mfma_f64_16x16x4_f64 a[64+0:71+0], v[vgprValuB_X1_I0+8+0+0:vgprValuB_X1_I0+8+0+0+1], v[vgprValuA_X0_I0+0+2+0:vgprValuA_X0_I0+0+2+0+1], a[64:71]
/*  mfmaIndex:23  */
/* localReadsVacancy: latencyLeft 5 */
_ds_load_b64 v[vgprValuB_X5_I0+2:vgprValuB_X5_I0+2+1], v[vgprLocalReadAddrB] offset:15360 // L -> Reg lro=1904 swapByteOffset=0 ti=16 vIdx=1 rIdx=0 oIdx=0 buffer=5 iui=0
_ds_load_b64 v[vgprValuB_X5_I0+4:vgprValuB_X5_I0+4+1], v[vgprLocalReadAddrB] offset:15488 // L -> Reg lro=1904 swapByteOffset=0 ti=16 vIdx=2 rIdx=0 oIdx=0 buffer=5 iui=0
v_mfma_f64_16x16x4_f64 a[72+0:79+0], v[vgprValuB_X1_I0+8+0+0:vgprValuB_X1_I0+8+0+0+1], v[vgprValuA_X0_I0+4+2+0:vgprValuA_X0_I0+4+2+0+1], a[72:79]
/*  mfmaIndex:24  */
/* localReadsVacancy: latencyLeft 5 */
_ds_load_b64 v[vgprValuB_X5_I0+6:vgprValuB_X5_I0+6+1], v[vgprLocalReadAddrB] offset:15616 // L -> Reg lro=1904 swapByteOffset=0 ti=16 vIdx=3 rIdx=0 oIdx=0 buffer=5 iui=0
	;; [unrolled: 5-line block ×3, first 2 shown]
_ds_load_b64 v[vgprValuB_X5_I0+12:vgprValuB_X5_I0+12+1], v[vgprLocalReadAddrB] offset:16000 // L -> Reg lro=1904 swapByteOffset=0 ti=16 vIdx=6 rIdx=0 oIdx=0 buffer=5 iui=0
v_mfma_f64_16x16x4_f64 a[80+0:87+0], v[vgprValuB_X1_I0+10+0+0:vgprValuB_X1_I0+10+0+0+1], v[vgprValuA_X0_I0+0+2+0:vgprValuA_X0_I0+0+2+0+1], a[80:87]
/*  mfmaIndex:26  */
/* localReadsVacancy: latencyLeft 5 */
_ds_load_b64 v[vgprValuB_X6_I0+0:vgprValuB_X6_I0+0+1], v[vgprLocalReadAddrB] offset:21504 // L -> Reg lro=2688 swapByteOffset=0 ti=16 vIdx=0 rIdx=0 oIdx=0 buffer=6 iui=0
_ds_load_b64 v[vgprValuB_X6_I0+2:vgprValuB_X6_I0+2+1], v[vgprLocalReadAddrB] offset:21632 // L -> Reg lro=2688 swapByteOffset=0 ti=16 vIdx=1 rIdx=0 oIdx=0 buffer=6 iui=0
v_mfma_f64_16x16x4_f64 a[96+0:103+0], v[vgprValuB_X1_I0+12+0+0:vgprValuB_X1_I0+12+0+0+1], v[vgprValuA_X0_I0+0+2+0:vgprValuA_X0_I0+0+2+0+1], a[96:103]
/*  mfmaIndex:27  */
/* localReadsVacancy: latencyLeft 5 */
_ds_load_b64 v[vgprValuB_X6_I0+4:vgprValuB_X6_I0+4+1], v[vgprLocalReadAddrB] offset:21760 // L -> Reg lro=2688 swapByteOffset=0 ti=16 vIdx=2 rIdx=0 oIdx=0 buffer=6 iui=0
_ds_load_b64 v[vgprValuB_X6_I0+6:vgprValuB_X6_I0+6+1], v[vgprLocalReadAddrB] offset:21888 // L -> Reg lro=2688 swapByteOffset=0 ti=16 vIdx=3 rIdx=0 oIdx=0 buffer=6 iui=0
v_mfma_f64_16x16x4_f64 a[104+0:111+0], v[vgprValuB_X1_I0+12+0+0:vgprValuB_X1_I0+12+0+0+1], v[vgprValuA_X0_I0+4+2+0:vgprValuA_X0_I0+4+2+0+1], a[104:111]
/* numPrefetchIter=0 */
/* dataAtIterA=-1 numReadsIterA=2 skipReadsIterA=0 readsPerIterA=2 */
/* dataAtIterB=0 numReadsIterB=2 skipReadsIterB=1 readsPerIterB=7 */


/* iter 2 */

/*  grEndMfmaIndex:4, lwStartMfmaIndex:37, lwEndMfmaIndex:101  */
/*  numMfmaForLR:8, barrierMfmaIndex:103, LocalWritePerMfma:0.220 */
/*  mfmaIndex:28  */
/* localReadsVacancy: latencyLeft 5 */
_ds_load_b64 v[vgprValuB_X6_I0+8:vgprValuB_X6_I0+8+1], v[vgprLocalReadAddrB] offset:22016 // L -> Reg lro=2688 swapByteOffset=0 ti=16 vIdx=4 rIdx=0 oIdx=0 buffer=6 iui=0
_ds_load_b64 v[vgprValuB_X6_I0+10:vgprValuB_X6_I0+10+1], v[vgprLocalReadAddrB] offset:22144 // L -> Reg lro=2688 swapByteOffset=0 ti=16 vIdx=5 rIdx=0 oIdx=0 buffer=6 iui=0
s_waitcnt lgkmcnt(15)                              // lgkmcnt=0 vmcnt=-1wait for prior local read local write old=8, new=8 newLW=0 newLR=0
v_mfma_f64_16x16x4_f64 a[0+0:7+0], v[vgprValuB_X2_I0+0+0+0:vgprValuB_X2_I0+0+0+0+1], v[vgprValuA_X2_I0+0+0+0:vgprValuA_X2_I0+0+0+0+1], a[0:7]
/*  mfmaIndex:29  */
/* localReadsVacancy: latencyLeft 5 */
_ds_load_b64 v[vgprValuB_X6_I0+12:vgprValuB_X6_I0+12+1], v[vgprLocalReadAddrB] offset:22272 // L -> Reg lro=2688 swapByteOffset=0 ti=16 vIdx=6 rIdx=0 oIdx=0 buffer=6 iui=0
_ds_load_b64 v[vgprValuB_X7_I0+0:vgprValuB_X7_I0+0+1], v[vgprLocalReadAddrB] offset:22400 // L -> Reg lro=2800 swapByteOffset=0 ti=16 vIdx=0 rIdx=0 oIdx=0 buffer=7 iui=0
v_mfma_f64_16x16x4_f64 a[8+0:15+0], v[vgprValuB_X2_I0+0+0+0:vgprValuB_X2_I0+0+0+0+1], v[vgprValuA_X2_I0+4+0+0:vgprValuA_X2_I0+4+0+0+1], a[8:15]
/*  mfmaIndex:30  */
/* localReadsVacancy: latencyLeft 5 */
_ds_load_b64 v[vgprValuB_X7_I0+2:vgprValuB_X7_I0+2+1], v[vgprLocalReadAddrB] offset:22528 // L -> Reg lro=2800 swapByteOffset=0 ti=16 vIdx=1 rIdx=0 oIdx=0 buffer=7 iui=0
_ds_load_b64 v[vgprValuB_X7_I0+4:vgprValuB_X7_I0+4+1], v[vgprLocalReadAddrB] offset:22656 // L -> Reg lro=2800 swapByteOffset=0 ti=16 vIdx=2 rIdx=0 oIdx=0 buffer=7 iui=0
v_mfma_f64_16x16x4_f64 a[24+0:31+0], v[vgprValuB_X2_I0+2+0+0:vgprValuB_X2_I0+2+0+0+1], v[vgprValuA_X2_I0+4+0+0:vgprValuA_X2_I0+4+0+0+1], a[24:31]
/*  mfmaIndex:31  */
/* localReadsVacancy: latencyLeft 5 */
_ds_load_b64 v[vgprValuB_X7_I0+6:vgprValuB_X7_I0+6+1], v[vgprLocalReadAddrB] offset:22784 // L -> Reg lro=2800 swapByteOffset=0 ti=16 vIdx=3 rIdx=0 oIdx=0 buffer=7 iui=0
_ds_load_b64 v[vgprValuB_X7_I0+8:vgprValuB_X7_I0+8+1], v[vgprLocalReadAddrB] offset:22912 // L -> Reg lro=2800 swapByteOffset=0 ti=16 vIdx=4 rIdx=0 oIdx=0 buffer=7 iui=0
v_mfma_f64_16x16x4_f64 a[16+0:23+0], v[vgprValuB_X2_I0+2+0+0:vgprValuB_X2_I0+2+0+0+1], v[vgprValuA_X2_I0+0+0+0:vgprValuA_X2_I0+0+0+0+1], a[16:23]
/*  mfmaIndex:32  */
/* localReadsVacancy: latencyLeft 5 */
_ds_load_b64 v[vgprValuB_X7_I0+10:vgprValuB_X7_I0+10+1], v[vgprLocalReadAddrB] offset:23040 // L -> Reg lro=2800 swapByteOffset=0 ti=16 vIdx=5 rIdx=0 oIdx=0 buffer=7 iui=0
_ds_load_b64 v[vgprValuB_X7_I0+12:vgprValuB_X7_I0+12+1], v[vgprLocalReadAddrB] offset:23168 // L -> Reg lro=2800 swapByteOffset=0 ti=16 vIdx=6 rIdx=0 oIdx=0 buffer=7 iui=0
v_mfma_f64_16x16x4_f64 a[32+0:39+0], v[vgprValuB_X2_I0+4+0+0:vgprValuB_X2_I0+4+0+0+1], v[vgprValuA_X2_I0+0+0+0:vgprValuA_X2_I0+0+0+0+1], a[32:39]
/*  mfmaIndex:33  */
/* localReadsVacancy: latencyLeft 5 */
v_mfma_f64_16x16x4_f64 a[40+0:47+0], v[vgprValuB_X2_I0+4+0+0:vgprValuB_X2_I0+4+0+0+1], v[vgprValuA_X2_I0+4+0+0:vgprValuA_X2_I0+4+0+0+1], a[40:47]
/*  mfmaIndex:34  */
/* localReadsVacancy: latencyLeft 5 */
v_mfma_f64_16x16x4_f64 a[56+0:63+0], v[vgprValuB_X2_I0+6+0+0:vgprValuB_X2_I0+6+0+0+1], v[vgprValuA_X2_I0+4+0+0:vgprValuA_X2_I0+4+0+0+1], a[56:63]
/*  mfmaIndex:35  */
/* localReadsVacancy: latencyLeft 5 */
v_mfma_f64_16x16x4_f64 a[48+0:55+0], v[vgprValuB_X2_I0+6+0+0:vgprValuB_X2_I0+6+0+0+1], v[vgprValuA_X2_I0+0+0+0:vgprValuA_X2_I0+0+0+0+1], a[48:55]
/*  mfmaIndex:36  */
/* localReadsVacancy: latencyLeft 5 */
/* 1 LDS buffer: read-sync-write */
s_waitcnt lgkmcnt(0)                               // 
s_barrier                                          // 
v_mfma_f64_16x16x4_f64 a[64+0:71+0], v[vgprValuB_X2_I0+8+0+0:vgprValuB_X2_I0+8+0+0+1], v[vgprValuA_X2_I0+0+0+0:vgprValuA_X2_I0+0+0+0+1], a[64:71]
/*  mfmaIndex:37  */
/* sched write - iter 2 writesPerItem=1 */
s_waitcnt vmcnt(0)                                 // lgkmcnt=-1 vmcnt=0wait for global read before writing to local
_ds_store_b128 v[vgprLocalWriteAddrA], v[vgprG2LA+0:vgprG2LA+0+3] offset:0 // lwoA_0_0_0_0 = (0*LSCA)*(MT0I+PAD) + (0*LSPA) = 0
v_mfma_f64_16x16x4_f64 a[72+0:79+0], v[vgprValuB_X2_I0+8+0+0:vgprValuB_X2_I0+8+0+0+1], v[vgprValuA_X2_I0+4+0+0:vgprValuA_X2_I0+4+0+0+1], a[72:79]
/*  mfmaIndex:38  */
_buffer_load_b128 v[vgprG2LA+0:vgprG2LA+0+3], v[vgprGlobalReadOffsetA+0], s[sgprSrdA:sgprSrdA+3], 0, offen offset:0 // G -> Reg 0_0_0_0
v_mfma_f64_16x16x4_f64 a[88+0:95+0], v[vgprValuB_X2_I0+10+0+0:vgprValuB_X2_I0+10+0+0+1], v[vgprValuA_X2_I0+4+0+0:vgprValuA_X2_I0+4+0+0+1], a[88:95]
/*  mfmaIndex:39  */
v_mfma_f64_16x16x4_f64 a[80+0:87+0], v[vgprValuB_X2_I0+10+0+0:vgprValuB_X2_I0+10+0+0+1], v[vgprValuA_X2_I0+0+0+0:vgprValuA_X2_I0+0+0+0+1], a[80:87]
/*  mfmaIndex:40  */
v_mfma_f64_16x16x4_f64 a[96+0:103+0], v[vgprValuB_X2_I0+12+0+0:vgprValuB_X2_I0+12+0+0+1], v[vgprValuA_X2_I0+0+0+0:vgprValuA_X2_I0+0+0+0+1], a[96:103]
/*  mfmaIndex:41  */
/* sched write - iter 2 writesPerItem=1 */
s_waitcnt vmcnt(0)                                 // lgkmcnt=-1 vmcnt=0wait for global read before writing to local
_ds_store_b128 v[vgprLocalWriteAddrA], v[vgprG2LA+4:vgprG2LA+4+3] offset:4352 // lwoA_0_0_1_0 = (0*LSCA)*(MT0I+PAD) + (1*LSPA) = 4352
v_mfma_f64_16x16x4_f64 a[104+0:111+0], v[vgprValuB_X2_I0+12+0+0:vgprValuB_X2_I0+12+0+0+1], v[vgprValuA_X2_I0+4+0+0:vgprValuA_X2_I0+4+0+0+1], a[104:111]
/* numPrefetchIter=0 */
/* dataAtIterA=0 numReadsIterA=3 skipReadsIterA=0 readsPerIterA=2 */
/* dataAtIterB=1 numReadsIterB=3 skipReadsIterB=1 readsPerIterB=7 */


/* iter 3 */

/*  grEndMfmaIndex:4, lwStartMfmaIndex:37, lwEndMfmaIndex:101  */
/*  numMfmaForLR:8, barrierMfmaIndex:103, LocalWritePerMfma:0.220 */
/*  mfmaIndex:42  */
_buffer_load_b128 v[vgprG2LA+4:vgprG2LA+4+3], v[vgprGlobalReadOffsetA+0], s[sgprSrdA:sgprSrdA+3], s[sgprScalarGlobalReadOffsetA+0], offen offset:0 // G -> Reg 0_0_1_0
v_mfma_f64_16x16x4_f64 a[0+0:7+0], v[vgprValuB_X3_I0+0+0+0:vgprValuB_X3_I0+0+0+0+1], v[vgprValuA_X2_I0+0+2+0:vgprValuA_X2_I0+0+2+0+1], a[0:7]
/*  mfmaIndex:43  */
v_mfma_f64_16x16x4_f64 a[8+0:15+0], v[vgprValuB_X3_I0+0+0+0:vgprValuB_X3_I0+0+0+0+1], v[vgprValuA_X2_I0+4+2+0:vgprValuA_X2_I0+4+2+0+1], a[8:15]
/*  mfmaIndex:44  */
	;; [unrolled: 2-line block ×4, first 2 shown]
/* sched write - iter 3 writesPerItem=1 */
s_waitcnt vmcnt(0)                                 // lgkmcnt=-1 vmcnt=0wait for global read before writing to local
_ds_store_b128 v[vgprLocalWriteAddrA], v[vgprG2LA+8:vgprG2LA+8+3] offset:8704 // lwoA_0_0_2_0 = (0*LSCA)*(MT0I+PAD) + (2*LSPA) = 8704
v_mfma_f64_16x16x4_f64 a[32+0:39+0], v[vgprValuB_X3_I0+4+0+0:vgprValuB_X3_I0+4+0+0+1], v[vgprValuA_X2_I0+0+2+0:vgprValuA_X2_I0+0+2+0+1], a[32:39]
/*  mfmaIndex:47  */
_buffer_load_b128 v[vgprG2LA+8:vgprG2LA+8+3], v[vgprGlobalReadOffsetA+0], s[sgprSrdA:sgprSrdA+3], s[sgprScalarGlobalReadOffsetA+1], offen offset:0 // G -> Reg 0_0_2_0
v_mfma_f64_16x16x4_f64 a[40+0:47+0], v[vgprValuB_X3_I0+4+0+0:vgprValuB_X3_I0+4+0+0+1], v[vgprValuA_X2_I0+4+2+0:vgprValuA_X2_I0+4+2+0+1], a[40:47]
/*  mfmaIndex:48  */
v_mfma_f64_16x16x4_f64 a[56+0:63+0], v[vgprValuB_X3_I0+6+0+0:vgprValuB_X3_I0+6+0+0+1], v[vgprValuA_X2_I0+4+2+0:vgprValuA_X2_I0+4+2+0+1], a[56:63]
/*  mfmaIndex:49  */
	;; [unrolled: 2-line block ×3, first 2 shown]
/* sched write - iter 3 writesPerItem=1 */
s_waitcnt vmcnt(0)                                 // lgkmcnt=-1 vmcnt=0wait for global read before writing to local
_ds_store_b128 v[vgprLocalWriteAddrA], v[vgprG2LA+12:vgprG2LA+12+3] offset:13056 // lwoA_0_0_3_0 = (0*LSCA)*(MT0I+PAD) + (3*LSPA) = 13056
v_mfma_f64_16x16x4_f64 a[64+0:71+0], v[vgprValuB_X3_I0+8+0+0:vgprValuB_X3_I0+8+0+0+1], v[vgprValuA_X2_I0+0+2+0:vgprValuA_X2_I0+0+2+0+1], a[64:71]
/*  mfmaIndex:51  */
_buffer_load_b128 v[vgprG2LA+12:vgprG2LA+12+3], v[vgprGlobalReadOffsetA+0], s[sgprSrdA:sgprSrdA+3], s[sgprScalarGlobalReadOffsetA+2], offen offset:0 // G -> Reg 0_0_3_0
v_mfma_f64_16x16x4_f64 a[72+0:79+0], v[vgprValuB_X3_I0+8+0+0:vgprValuB_X3_I0+8+0+0+1], v[vgprValuA_X2_I0+4+2+0:vgprValuA_X2_I0+4+2+0+1], a[72:79]
/*  mfmaIndex:52  */
v_mfma_f64_16x16x4_f64 a[88+0:95+0], v[vgprValuB_X3_I0+10+0+0:vgprValuB_X3_I0+10+0+0+1], v[vgprValuA_X2_I0+4+2+0:vgprValuA_X2_I0+4+2+0+1], a[88:95]
/*  mfmaIndex:53  */
	;; [unrolled: 2-line block ×4, first 2 shown]
/* sched write - iter 3 writesPerItem=1 */
s_waitcnt vmcnt(0)                                 // lgkmcnt=-1 vmcnt=0wait for global read before writing to local
_ds_store_b128 v[vgprLocalWriteAddrA], v[vgprG2LA+16:vgprG2LA+16+3] offset:17408 // lwoA_0_0_4_0 = (0*LSCA)*(MT0I+PAD) + (4*LSPA) = 17408
v_mfma_f64_16x16x4_f64 a[104+0:111+0], v[vgprValuB_X3_I0+12+0+0:vgprValuB_X3_I0+12+0+0+1], v[vgprValuA_X2_I0+4+2+0:vgprValuA_X2_I0+4+2+0+1], a[104:111]


/* iter 4 */

/*  grEndMfmaIndex:4, lwStartMfmaIndex:37, lwEndMfmaIndex:101  */
/*  numMfmaForLR:8, barrierMfmaIndex:103, LocalWritePerMfma:0.220 */
/*  mfmaIndex:56  */
_buffer_load_b128 v[vgprG2LA+16:vgprG2LA+16+3], v[vgprGlobalReadOffsetA+0], s[sgprSrdA:sgprSrdA+3], s[sgprScalarGlobalReadOffsetA+3], offen offset:0 // G -> Reg 0_0_4_0
v_mfma_f64_16x16x4_f64 a[0+0:7+0], v[vgprValuB_X4_I0+0+0+0:vgprValuB_X4_I0+0+0+0+1], v[vgprValuA_X4_I0+0+0+0:vgprValuA_X4_I0+0+0+0+1], a[0:7]
/*  mfmaIndex:57  */
v_mfma_f64_16x16x4_f64 a[8+0:15+0], v[vgprValuB_X4_I0+0+0+0:vgprValuB_X4_I0+0+0+0+1], v[vgprValuA_X4_I0+4+0+0:vgprValuA_X4_I0+4+0+0+1], a[8:15]
/*  mfmaIndex:58  */
	;; [unrolled: 2-line block ×3, first 2 shown]
/* sched write - iter 4 writesPerItem=1 */
s_waitcnt vmcnt(0)                                 // lgkmcnt=-1 vmcnt=0wait for global read before writing to local
_ds_store_b128 v[vgprLocalWriteAddrA], v[vgprG2LA+20:vgprG2LA+20+3] offset:21760 // lwoA_0_0_5_0 = (0*LSCA)*(MT0I+PAD) + (5*LSPA) = 21760
v_mfma_f64_16x16x4_f64 a[16+0:23+0], v[vgprValuB_X4_I0+2+0+0:vgprValuB_X4_I0+2+0+0+1], v[vgprValuA_X4_I0+0+0+0:vgprValuA_X4_I0+0+0+0+1], a[16:23]
/*  mfmaIndex:60  */
_buffer_load_b128 v[vgprG2LA+20:vgprG2LA+20+3], v[vgprGlobalReadOffsetA+0], s[sgprSrdA:sgprSrdA+3], s[sgprScalarGlobalReadOffsetA+4], offen offset:0 // G -> Reg 0_0_5_0
v_mfma_f64_16x16x4_f64 a[32+0:39+0], v[vgprValuB_X4_I0+4+0+0:vgprValuB_X4_I0+4+0+0+1], v[vgprValuA_X4_I0+0+0+0:vgprValuA_X4_I0+0+0+0+1], a[32:39]
/*  mfmaIndex:61  */
v_mfma_f64_16x16x4_f64 a[40+0:47+0], v[vgprValuB_X4_I0+4+0+0:vgprValuB_X4_I0+4+0+0+1], v[vgprValuA_X4_I0+4+0+0:vgprValuA_X4_I0+4+0+0+1], a[40:47]
/*  mfmaIndex:62  */
	;; [unrolled: 2-line block ×4, first 2 shown]
/* sched write - iter 4 writesPerItem=1 */
s_waitcnt vmcnt(0)                                 // lgkmcnt=-1 vmcnt=0wait for global read before writing to local
_ds_store_b128 v[vgprLocalWriteAddrA], v[vgprG2LA+24:vgprG2LA+24+3] offset:26112 // lwoA_0_0_6_0 = (0*LSCA)*(MT0I+PAD) + (6*LSPA) = 26112
v_mfma_f64_16x16x4_f64 a[64+0:71+0], v[vgprValuB_X4_I0+8+0+0:vgprValuB_X4_I0+8+0+0+1], v[vgprValuA_X4_I0+0+0+0:vgprValuA_X4_I0+0+0+0+1], a[64:71]
/*  mfmaIndex:65  */
_buffer_load_b128 v[vgprG2LA+24:vgprG2LA+24+3], v[vgprGlobalReadOffsetA+0], s[sgprSrdA:sgprSrdA+3], s[sgprScalarGlobalReadOffsetA+5], offen offset:0 // G -> Reg 0_0_6_0
v_mfma_f64_16x16x4_f64 a[72+0:79+0], v[vgprValuB_X4_I0+8+0+0:vgprValuB_X4_I0+8+0+0+1], v[vgprValuA_X4_I0+4+0+0:vgprValuA_X4_I0+4+0+0+1], a[72:79]
/*  mfmaIndex:66  */
v_mfma_f64_16x16x4_f64 a[88+0:95+0], v[vgprValuB_X4_I0+10+0+0:vgprValuB_X4_I0+10+0+0+1], v[vgprValuA_X4_I0+4+0+0:vgprValuA_X4_I0+4+0+0+1], a[88:95]
/*  mfmaIndex:67  */
	;; [unrolled: 2-line block ×3, first 2 shown]
/* sched write - iter 4 writesPerItem=1 */
s_waitcnt vmcnt(0)                                 // lgkmcnt=-1 vmcnt=0wait for global read before writing to local
_ds_store_b128 v[vgprLocalWriteAddrA], v[vgprG2LA+28:vgprG2LA+28+3] offset:30464 // lwoA_0_0_7_0 = (0*LSCA)*(MT0I+PAD) + (7*LSPA) = 30464
v_mfma_f64_16x16x4_f64 a[96+0:103+0], v[vgprValuB_X4_I0+12+0+0:vgprValuB_X4_I0+12+0+0+1], v[vgprValuA_X4_I0+0+0+0:vgprValuA_X4_I0+0+0+0+1], a[96:103]
/*  mfmaIndex:69  */
_buffer_load_b128 v[vgprG2LA+28:vgprG2LA+28+3], v[vgprGlobalReadOffsetA+0], s[sgprSrdA:sgprSrdA+3], s[sgprScalarGlobalReadOffsetA+6], offen offset:0 // G -> Reg 0_0_7_0
v_mfma_f64_16x16x4_f64 a[104+0:111+0], v[vgprValuB_X4_I0+12+0+0:vgprValuB_X4_I0+12+0+0+1], v[vgprValuA_X4_I0+4+0+0:vgprValuA_X4_I0+4+0+0+1], a[104:111]


/* iter 5 */

/*  grEndMfmaIndex:4, lwStartMfmaIndex:37, lwEndMfmaIndex:101  */
/*  numMfmaForLR:8, barrierMfmaIndex:103, LocalWritePerMfma:0.220 */
/*  mfmaIndex:70  */
v_mfma_f64_16x16x4_f64 a[0+0:7+0], v[vgprValuB_X5_I0+0+0+0:vgprValuB_X5_I0+0+0+0+1], v[vgprValuA_X4_I0+0+2+0:vgprValuA_X4_I0+0+2+0+1], a[0:7]
/*  mfmaIndex:71  */
v_mfma_f64_16x16x4_f64 a[8+0:15+0], v[vgprValuB_X5_I0+0+0+0:vgprValuB_X5_I0+0+0+0+1], v[vgprValuA_X4_I0+4+2+0:vgprValuA_X4_I0+4+2+0+1], a[8:15]
	;; [unrolled: 2-line block ×3, first 2 shown]
/*  mfmaIndex:73  */
/* sched write - iter 5 writesPerItem=1 */
s_waitcnt vmcnt(0)                                 // lgkmcnt=-1 vmcnt=0wait for global read before writing to local
_ds_store_b128 v[vgprLocalWriteAddrB], v[vgprG2LB+0:vgprG2LB+0+3] offset:0 // lwoB_0_0_0_0 = (0*LSCB) + (0*LSPB)(*MT1J+PAD) = 0
v_mfma_f64_16x16x4_f64 a[16+0:23+0], v[vgprValuB_X5_I0+2+0+0:vgprValuB_X5_I0+2+0+0+1], v[vgprValuA_X4_I0+0+2+0:vgprValuA_X4_I0+0+2+0+1], a[16:23]
/*  mfmaIndex:74  */
_buffer_load_b128 v[vgprG2LB+0:vgprG2LB+0+3], v[vgprGlobalReadOffsetB+0], s[sgprSrdB:sgprSrdB+3], 0, offen offset:0 // G -> Reg 0_0_0_0
v_mfma_f64_16x16x4_f64 a[32+0:39+0], v[vgprValuB_X5_I0+4+0+0:vgprValuB_X5_I0+4+0+0+1], v[vgprValuA_X4_I0+0+2+0:vgprValuA_X4_I0+0+2+0+1], a[32:39]
/*  mfmaIndex:75  */
v_mfma_f64_16x16x4_f64 a[40+0:47+0], v[vgprValuB_X5_I0+4+0+0:vgprValuB_X5_I0+4+0+0+1], v[vgprValuA_X4_I0+4+2+0:vgprValuA_X4_I0+4+2+0+1], a[40:47]
/*  mfmaIndex:76  */
	;; [unrolled: 2-line block ×3, first 2 shown]
/* sched write - iter 5 writesPerItem=1 */
s_waitcnt vmcnt(0)                                 // lgkmcnt=-1 vmcnt=0wait for global read before writing to local
_ds_store_b128 v[vgprLocalWriteAddrB], v[vgprG2LB+4:vgprG2LB+4+3] offset:128 // lwoB_1_0_0_0 = (1*LSCB) + (0*LSPB)(*MT1J+PAD) = 128
v_mfma_f64_16x16x4_f64 a[48+0:55+0], v[vgprValuB_X5_I0+6+0+0:vgprValuB_X5_I0+6+0+0+1], v[vgprValuA_X4_I0+0+2+0:vgprValuA_X4_I0+0+2+0+1], a[48:55]
/*  mfmaIndex:78  */
_buffer_load_b128 v[vgprG2LB+4:vgprG2LB+4+3], v[vgprGlobalReadOffsetB+0], s[sgprSrdB:sgprSrdB+3], s[sgprScalarGlobalReadOffsetB+0], offen offset:0 // G -> Reg 1_0_0_0
v_mfma_f64_16x16x4_f64 a[64+0:71+0], v[vgprValuB_X5_I0+8+0+0:vgprValuB_X5_I0+8+0+0+1], v[vgprValuA_X4_I0+0+2+0:vgprValuA_X4_I0+0+2+0+1], a[64:71]
/*  mfmaIndex:79  */
v_mfma_f64_16x16x4_f64 a[72+0:79+0], v[vgprValuB_X5_I0+8+0+0:vgprValuB_X5_I0+8+0+0+1], v[vgprValuA_X4_I0+4+2+0:vgprValuA_X4_I0+4+2+0+1], a[72:79]
/*  mfmaIndex:80  */
v_mfma_f64_16x16x4_f64 a[88+0:95+0], v[vgprValuB_X5_I0+10+0+0:vgprValuB_X5_I0+10+0+0+1], v[vgprValuA_X4_I0+4+2+0:vgprValuA_X4_I0+4+2+0+1], a[88:95]
/*  mfmaIndex:81  */
v_mfma_f64_16x16x4_f64 a[80+0:87+0], v[vgprValuB_X5_I0+10+0+0:vgprValuB_X5_I0+10+0+0+1], v[vgprValuA_X4_I0+0+2+0:vgprValuA_X4_I0+0+2+0+1], a[80:87]
/*  mfmaIndex:82  */
/* sched write - iter 5 writesPerItem=1 */
s_waitcnt vmcnt(0)                                 // lgkmcnt=-1 vmcnt=0wait for global read before writing to local
_ds_store_b128 v[vgprLocalWriteAddrB], v[vgprG2LB+8:vgprG2LB+8+3] offset:256 // lwoB_2_0_0_0 = (2*LSCB) + (0*LSPB)(*MT1J+PAD) = 256
v_mfma_f64_16x16x4_f64 a[96+0:103+0], v[vgprValuB_X5_I0+12+0+0:vgprValuB_X5_I0+12+0+0+1], v[vgprValuA_X4_I0+0+2+0:vgprValuA_X4_I0+0+2+0+1], a[96:103]
/*  mfmaIndex:83  */
_buffer_load_b128 v[vgprG2LB+8:vgprG2LB+8+3], v[vgprGlobalReadOffsetB+0], s[sgprSrdB:sgprSrdB+3], s[sgprScalarGlobalReadOffsetB+1], offen offset:0 // G -> Reg 2_0_0_0
v_mfma_f64_16x16x4_f64 a[104+0:111+0], v[vgprValuB_X5_I0+12+0+0:vgprValuB_X5_I0+12+0+0+1], v[vgprValuA_X4_I0+4+2+0:vgprValuA_X4_I0+4+2+0+1], a[104:111]


/* iter 6 (reset local read pointers iteration)  (swap local read pointers iteration)  */

/*  grEndMfmaIndex:4, lwStartMfmaIndex:37, lwEndMfmaIndex:101  */
/*  numMfmaForLR:8, barrierMfmaIndex:103, LocalWritePerMfma:0.220 */
/*  mfmaIndex:84  */
v_mfma_f64_16x16x4_f64 a[0+0:7+0], v[vgprValuB_X6_I0+0+0+0:vgprValuB_X6_I0+0+0+0+1], v[vgprValuA_X6_I0+0+0+0:vgprValuA_X6_I0+0+0+0+1], a[0:7]
/*  mfmaIndex:85  */
v_mfma_f64_16x16x4_f64 a[8+0:15+0], v[vgprValuB_X6_I0+0+0+0:vgprValuB_X6_I0+0+0+0+1], v[vgprValuA_X6_I0+4+0+0:vgprValuA_X6_I0+4+0+0+1], a[8:15]
	;; [unrolled: 2-line block ×3, first 2 shown]
/*  mfmaIndex:87  */
/* sched write - iter 6 writesPerItem=1 */
s_waitcnt vmcnt(0)                                 // lgkmcnt=-1 vmcnt=0wait for global read before writing to local
_ds_store_b128 v[vgprLocalWriteAddrB], v[vgprG2LB+12:vgprG2LB+12+3] offset:384 // lwoB_3_0_0_0 = (3*LSCB) + (0*LSPB)(*MT1J+PAD) = 384
v_mfma_f64_16x16x4_f64 a[16+0:23+0], v[vgprValuB_X6_I0+2+0+0:vgprValuB_X6_I0+2+0+0+1], v[vgprValuA_X6_I0+0+0+0:vgprValuA_X6_I0+0+0+0+1], a[16:23]
/*  mfmaIndex:88  */
_buffer_load_b128 v[vgprG2LB+12:vgprG2LB+12+3], v[vgprGlobalReadOffsetB+0], s[sgprSrdB:sgprSrdB+3], s[sgprScalarGlobalReadOffsetB+2], offen offset:0 // G -> Reg 3_0_0_0
v_mfma_f64_16x16x4_f64 a[32+0:39+0], v[vgprValuB_X6_I0+4+0+0:vgprValuB_X6_I0+4+0+0+1], v[vgprValuA_X6_I0+0+0+0:vgprValuA_X6_I0+0+0+0+1], a[32:39]
/*  mfmaIndex:89  */
v_mfma_f64_16x16x4_f64 a[40+0:47+0], v[vgprValuB_X6_I0+4+0+0:vgprValuB_X6_I0+4+0+0+1], v[vgprValuA_X6_I0+4+0+0:vgprValuA_X6_I0+4+0+0+1], a[40:47]
/*  mfmaIndex:90  */
	;; [unrolled: 2-line block ×3, first 2 shown]
/* sched write - iter 6 writesPerItem=1 */
s_waitcnt vmcnt(0)                                 // lgkmcnt=-1 vmcnt=0wait for global read before writing to local
_ds_store_b128 v[vgprLocalWriteAddrB], v[vgprG2LB+16:vgprG2LB+16+3] offset:512 // lwoB_4_0_0_0 = (4*LSCB) + (0*LSPB)(*MT1J+PAD) = 512
v_mfma_f64_16x16x4_f64 a[48+0:55+0], v[vgprValuB_X6_I0+6+0+0:vgprValuB_X6_I0+6+0+0+1], v[vgprValuA_X6_I0+0+0+0:vgprValuA_X6_I0+0+0+0+1], a[48:55]
/*  mfmaIndex:92  */
_buffer_load_b128 v[vgprG2LB+16:vgprG2LB+16+3], v[vgprGlobalReadOffsetB+0], s[sgprSrdB:sgprSrdB+3], s[sgprScalarGlobalReadOffsetB+3], offen offset:0 // G -> Reg 4_0_0_0
v_mfma_f64_16x16x4_f64 a[64+0:71+0], v[vgprValuB_X6_I0+8+0+0:vgprValuB_X6_I0+8+0+0+1], v[vgprValuA_X6_I0+0+0+0:vgprValuA_X6_I0+0+0+0+1], a[64:71]
/*  mfmaIndex:93  */
v_mfma_f64_16x16x4_f64 a[72+0:79+0], v[vgprValuB_X6_I0+8+0+0:vgprValuB_X6_I0+8+0+0+1], v[vgprValuA_X6_I0+4+0+0:vgprValuA_X6_I0+4+0+0+1], a[72:79]
/*  mfmaIndex:94  */
	;; [unrolled: 2-line block ×4, first 2 shown]
/* sched write - iter 6 writesPerItem=1 */
s_waitcnt vmcnt(0)                                 // lgkmcnt=-1 vmcnt=0wait for global read before writing to local
_ds_store_b128 v[vgprLocalWriteAddrB], v[vgprG2LB+20:vgprG2LB+20+3] offset:640 // lwoB_5_0_0_0 = (5*LSCB) + (0*LSPB)(*MT1J+PAD) = 640
v_mfma_f64_16x16x4_f64 a[96+0:103+0], v[vgprValuB_X6_I0+12+0+0:vgprValuB_X6_I0+12+0+0+1], v[vgprValuA_X6_I0+0+0+0:vgprValuA_X6_I0+0+0+0+1], a[96:103]
/*  mfmaIndex:97  */
_buffer_load_b128 v[vgprG2LB+20:vgprG2LB+20+3], v[vgprGlobalReadOffsetB+0], s[sgprSrdB:sgprSrdB+3], s[sgprScalarGlobalReadOffsetB+4], offen offset:0 // G -> Reg 5_0_0_0

/* local read swap offsets a */

/* local read swap offsets b */

/* local read init pointers a */

/* localReadInitPointers */

/* local read init pointers b */

/* localReadInitPointers */
v_mfma_f64_16x16x4_f64 a[104+0:111+0], v[vgprValuB_X6_I0+12+0+0:vgprValuB_X6_I0+12+0+0+1], v[vgprValuA_X6_I0+4+0+0:vgprValuA_X6_I0+4+0+0+1], a[104:111]


/* iter 7 (swap and reset local write pointers iteration)  */

/*  grEndMfmaIndex:4, lwStartMfmaIndex:37, lwEndMfmaIndex:101  */
/*  numMfmaForLR:8, barrierMfmaIndex:103, LocalWritePerMfma:0.220 */
/*  mfmaIndex:98  */
v_mfma_f64_16x16x4_f64 a[0+0:7+0], v[vgprValuB_X7_I0+0+0+0:vgprValuB_X7_I0+0+0+0+1], v[vgprValuA_X6_I0+0+2+0:vgprValuA_X6_I0+0+2+0+1], a[0:7]
/*  mfmaIndex:99  */
v_mfma_f64_16x16x4_f64 a[8+0:15+0], v[vgprValuB_X7_I0+0+0+0:vgprValuB_X7_I0+0+0+0+1], v[vgprValuA_X6_I0+4+2+0:vgprValuA_X6_I0+4+2+0+1], a[8:15]
/*  mfmaIndex:100  */
/* sched write - iter 7 writesPerItem=1 */
s_waitcnt vmcnt(0)                                 // lgkmcnt=-1 vmcnt=0wait for global read before writing to local
_ds_store_b128 v[vgprLocalWriteAddrB], v[vgprG2LB+24:vgprG2LB+24+3] offset:768 // lwoB_6_0_0_0 = (6*LSCB) + (0*LSPB)(*MT1J+PAD) = 768
v_mfma_f64_16x16x4_f64 a[24+0:31+0], v[vgprValuB_X7_I0+2+0+0:vgprValuB_X7_I0+2+0+0+1], v[vgprValuA_X6_I0+4+2+0:vgprValuA_X6_I0+4+2+0+1], a[24:31]
/*  mfmaIndex:101  */
_buffer_load_b128 v[vgprG2LB+24:vgprG2LB+24+3], v[vgprGlobalReadOffsetB+0], s[sgprSrdB:sgprSrdB+3], s[sgprScalarGlobalReadOffsetB+5], offen offset:0 // G -> Reg 6_0_0_0

/* local write swap offsets a */

/* local write swap offsets b */
v_mfma_f64_16x16x4_f64 a[16+0:23+0], v[vgprValuB_X7_I0+2+0+0:vgprValuB_X7_I0+2+0+0+1], v[vgprValuA_X6_I0+0+2+0:vgprValuA_X6_I0+0+2+0+1], a[16:23]
/*  mfmaIndex:102  */
v_mfma_f64_16x16x4_f64 a[32+0:39+0], v[vgprValuB_X7_I0+4+0+0:vgprValuB_X7_I0+4+0+0+1], v[vgprValuA_X6_I0+0+2+0:vgprValuA_X6_I0+0+2+0+1], a[32:39]
/*  mfmaIndex:103  */
s_waitcnt lgkmcnt(0)                               // lgkmcnt=0 vmcnt=-13wait for local write
// Skip force waitcnt0
s_barrier //
v_mfma_f64_16x16x4_f64 a[40+0:47+0], v[vgprValuB_X7_I0+4+0+0:vgprValuB_X7_I0+4+0+0+1], v[vgprValuA_X6_I0+4+2+0:vgprValuA_X6_I0+4+2+0+1], a[40:47]
/*  mfmaIndex:104  */
_ds_load_b128 v[vgprValuA_X0_I0+0:vgprValuA_X0_I0+0+3], v[vgprLocalReadAddrA] offset:0 // L -> Reg lro=0 swapByteOffset=0 ti=128 vIdx=0 rIdx=0 oIdx=0 buffer=0 iui=0
v_mfma_f64_16x16x4_f64 a[56+0:63+0], v[vgprValuB_X7_I0+6+0+0:vgprValuB_X7_I0+6+0+0+1], v[vgprValuA_X6_I0+4+2+0:vgprValuA_X6_I0+4+2+0+1], a[56:63]
/*  mfmaIndex:105  */
_ds_load_b64 v[vgprValuB_X0_I0+0:vgprValuB_X0_I0+0+1], v[vgprLocalReadAddrB] offset:0 // L -> Reg lro=0 swapByteOffset=0 ti=16 vIdx=0 rIdx=0 oIdx=0 buffer=0 iui=0
v_mfma_f64_16x16x4_f64 a[48+0:55+0], v[vgprValuB_X7_I0+6+0+0:vgprValuB_X7_I0+6+0+0+1], v[vgprValuA_X6_I0+0+2+0:vgprValuA_X6_I0+0+2+0+1], a[48:55]
/*  mfmaIndex:106  */
_ds_load_b128 v[vgprValuA_X0_I0+4:vgprValuA_X0_I0+4+3], v[vgprLocalReadAddrA] offset:256 // L -> Reg lro=0 swapByteOffset=0 ti=128 vIdx=0 rIdx=0 oIdx=0 buffer=0 iui=0
v_mfma_f64_16x16x4_f64 a[64+0:71+0], v[vgprValuB_X7_I0+8+0+0:vgprValuB_X7_I0+8+0+0+1], v[vgprValuA_X6_I0+0+2+0:vgprValuA_X6_I0+0+2+0+1], a[64:71]
/*  mfmaIndex:107  */
_ds_load_b64 v[vgprValuB_X0_I0+2:vgprValuB_X0_I0+2+1], v[vgprLocalReadAddrB] offset:128 // L -> Reg lro=0 swapByteOffset=0 ti=16 vIdx=1 rIdx=0 oIdx=0 buffer=0 iui=0
_ds_load_b64 v[vgprValuB_X0_I0+4:vgprValuB_X0_I0+4+1], v[vgprLocalReadAddrB] offset:256 // L -> Reg lro=0 swapByteOffset=0 ti=16 vIdx=2 rIdx=0 oIdx=0 buffer=0 iui=0
v_mfma_f64_16x16x4_f64 a[72+0:79+0], v[vgprValuB_X7_I0+8+0+0:vgprValuB_X7_I0+8+0+0+1], v[vgprValuA_X6_I0+4+2+0:vgprValuA_X6_I0+4+2+0+1], a[72:79]
/*  mfmaIndex:108  */
_ds_load_b64 v[vgprValuB_X0_I0+6:vgprValuB_X0_I0+6+1], v[vgprLocalReadAddrB] offset:384 // L -> Reg lro=0 swapByteOffset=0 ti=16 vIdx=3 rIdx=0 oIdx=0 buffer=0 iui=0
_ds_load_b64 v[vgprValuB_X0_I0+8:vgprValuB_X0_I0+8+1], v[vgprLocalReadAddrB] offset:512 // L -> Reg lro=0 swapByteOffset=0 ti=16 vIdx=4 rIdx=0 oIdx=0 buffer=0 iui=0
	;; [unrolled: 4-line block ×3, first 2 shown]
v_mfma_f64_16x16x4_f64 a[80+0:87+0], v[vgprValuB_X7_I0+10+0+0:vgprValuB_X7_I0+10+0+0+1], v[vgprValuA_X6_I0+0+2+0:vgprValuA_X6_I0+0+2+0+1], a[80:87]
/*  mfmaIndex:110  */
v_mfma_f64_16x16x4_f64 a[96+0:103+0], v[vgprValuB_X7_I0+12+0+0:vgprValuB_X7_I0+12+0+0+1], v[vgprValuA_X6_I0+0+2+0:vgprValuA_X6_I0+0+2+0+1], a[96:103]
/*  mfmaIndex:111  */
v_mfma_f64_16x16x4_f64 a[104+0:111+0], v[vgprValuB_X7_I0+12+0+0:vgprValuB_X7_I0+12+0+0+1], v[vgprValuA_X6_I0+4+2+0:vgprValuA_X6_I0+4+2+0+1], a[104:111]


/******************************************/
/* Unrolled Loop - End 2/2 (final)        */
/******************************************/


/* closeLoop loopL finalLoop=1 tailLoop=0 */
s_sub_u32 s[sgprLoopCounterL], s[sgprLoopCounterL], 1 // dec counterL
s_cmp_eq_i32 s[sgprLoopCounterL], 0x2              // counterL==2
s_cbranch_scc0 LoopBeginL_1                        // restart LoopL
LoopEndL_evenexit_4: // unroll loop eveniter exit
s_branch LoopEndL_2                                // exit unroll loopL (and skip second exit code)
LoopEndL_oddexit_3: // unroll loop odditer exit

/* Select high bank of LDS */
LoopEndL_2:


/* Before NLL: Check VGPR.checkin for INT8 LW */


/******************************************/
/* Ord. NoGlobalLoadLoop - Begin                                      */
/******************************************/


	;; [unrolled: 1-line block ×3, first 2 shown]
/* iter 0 */

/*  grEndMfmaIndex:4, lwStartMfmaIndex:37, lwEndMfmaIndex:101  */
/*  numMfmaForLR:8, barrierMfmaIndex:103, LocalWritePerMfma:0.220 */
/*  mfmaIndex:0  */
s_waitcnt lgkmcnt(0)                               // lgkmcnt=0 vmcnt=-1wait for prior local read local write old=0, new=0 newLW=0 newLR=0
v_mfma_f64_16x16x4_f64 a[0+0:7+0], v[vgprValuB_X0_I0+0+0+0:vgprValuB_X0_I0+0+0+0+1], v[vgprValuA_X0_I0+0+0+0:vgprValuA_X0_I0+0+0+0+1], a[0:7]
/*  mfmaIndex:1  */
_ds_load_b128 v[vgprValuA_X2_I0+0:vgprValuA_X2_I0+0+3], v[vgprLocalReadAddrA] offset:64 // L -> Reg lro=8 swapByteOffset=0 ti=128 vIdx=0 rIdx=0 oIdx=0 buffer=2 iui=0

/* global read inc A loopL */
s_add_u32 s[sgprSrdA+0], s[sgprSrdA+0], s[sgprGlobalReadIncsA+0] // gra SRD += inc(lower)
s_addc_u32  s[sgprSrdA+1], s[sgprSrdA+1], 0        // gra SRD += inc(upper)
s_sub_u32 s[sgprShadowLimitA+0], s[sgprShadowLimitA+0], s[sgprGlobalReadIncsA+0] // limit -= inc)
v_mfma_f64_16x16x4_f64 a[8+0:15+0], v[vgprValuB_X0_I0+0+0+0:vgprValuB_X0_I0+0+0+0+1], v[vgprValuA_X0_I0+4+0+0:vgprValuA_X0_I0+4+0+0+1], a[8:15]
/*  mfmaIndex:2  */
_ds_load_b64 v[vgprValuB_X1_I0+0:vgprValuB_X1_I0+0+1], v[vgprLocalReadAddrB] offset:896 // L -> Reg lro=112 swapByteOffset=0 ti=16 vIdx=0 rIdx=0 oIdx=0 buffer=1 iui=0
s_subb_u32 s[sgprShadowLimitA+1], s[sgprShadowLimitA+1], 0 // limit -= inc)
s_cmp_eq_u32 s[sgprShadowLimitA+1], 0              // are we within 2^32?
s_cmov_b32 s[sgprSrdA+2], s[sgprShadowLimitA+0]    // Move shadow to real if we are within 2^32
v_mfma_f64_16x16x4_f64 a[24+0:31+0], v[vgprValuB_X0_I0+2+0+0:vgprValuB_X0_I0+2+0+0+1], v[vgprValuA_X0_I0+4+0+0:vgprValuA_X0_I0+4+0+0+1], a[24:31]
/*  mfmaIndex:3  */
_ds_load_b128 v[vgprValuA_X2_I0+4:vgprValuA_X2_I0+4+3], v[vgprLocalReadAddrA] offset:320 // L -> Reg lro=8 swapByteOffset=0 ti=128 vIdx=0 rIdx=0 oIdx=0 buffer=2 iui=0

/* global read inc B loopL */
s_add_u32 s[sgprSrdB+0], s[sgprSrdB+0], s[sgprGlobalReadIncsB+0] // gra SRD += inc(lower)
s_addc_u32  s[sgprSrdB+1], s[sgprSrdB+1], 0        // gra SRD += inc(upper)
s_sub_u32 s[sgprShadowLimitB+0], s[sgprShadowLimitB+0], s[sgprGlobalReadIncsB+0] // limit -= inc)
v_mfma_f64_16x16x4_f64 a[16+0:23+0], v[vgprValuB_X0_I0+2+0+0:vgprValuB_X0_I0+2+0+0+1], v[vgprValuA_X0_I0+0+0+0:vgprValuA_X0_I0+0+0+0+1], a[16:23]
/*  mfmaIndex:4  */
_ds_load_b64 v[vgprValuB_X1_I0+2:vgprValuB_X1_I0+2+1], v[vgprLocalReadAddrB] offset:1024 // L -> Reg lro=112 swapByteOffset=0 ti=16 vIdx=1 rIdx=0 oIdx=0 buffer=1 iui=0
_ds_load_b64 v[vgprValuB_X1_I0+4:vgprValuB_X1_I0+4+1], v[vgprLocalReadAddrB] offset:1152 // L -> Reg lro=112 swapByteOffset=0 ti=16 vIdx=2 rIdx=0 oIdx=0 buffer=1 iui=0
s_subb_u32 s[sgprShadowLimitB+1], s[sgprShadowLimitB+1], 0 // limit -= inc)
s_cmp_eq_u32 s[sgprShadowLimitB+1], 0              // are we within 2^32?
s_cmov_b32 s[sgprSrdB+2], s[sgprShadowLimitB+0]    // Move shadow to real if we are within 2^32
v_mfma_f64_16x16x4_f64 a[32+0:39+0], v[vgprValuB_X0_I0+4+0+0:vgprValuB_X0_I0+4+0+0+1], v[vgprValuA_X0_I0+0+0+0:vgprValuA_X0_I0+0+0+0+1], a[32:39]
/*  mfmaIndex:5  */
_ds_load_b64 v[vgprValuB_X1_I0+6:vgprValuB_X1_I0+6+1], v[vgprLocalReadAddrB] offset:1280 // L -> Reg lro=112 swapByteOffset=0 ti=16 vIdx=3 rIdx=0 oIdx=0 buffer=1 iui=0
_ds_load_b64 v[vgprValuB_X1_I0+8:vgprValuB_X1_I0+8+1], v[vgprLocalReadAddrB] offset:1408 // L -> Reg lro=112 swapByteOffset=0 ti=16 vIdx=4 rIdx=0 oIdx=0 buffer=1 iui=0
v_mfma_f64_16x16x4_f64 a[40+0:47+0], v[vgprValuB_X0_I0+4+0+0:vgprValuB_X0_I0+4+0+0+1], v[vgprValuA_X0_I0+4+0+0:vgprValuA_X0_I0+4+0+0+1], a[40:47]
/*  mfmaIndex:6  */
_ds_load_b64 v[vgprValuB_X1_I0+10:vgprValuB_X1_I0+10+1], v[vgprLocalReadAddrB] offset:1536 // L -> Reg lro=112 swapByteOffset=0 ti=16 vIdx=5 rIdx=0 oIdx=0 buffer=1 iui=0
_ds_load_b64 v[vgprValuB_X1_I0+12:vgprValuB_X1_I0+12+1], v[vgprLocalReadAddrB] offset:1664 // L -> Reg lro=112 swapByteOffset=0 ti=16 vIdx=6 rIdx=0 oIdx=0 buffer=1 iui=0
/* localReadsVacancy: latencyLeft 1 */
v_mfma_f64_16x16x4_f64 a[56+0:63+0], v[vgprValuB_X0_I0+6+0+0:vgprValuB_X0_I0+6+0+0+1], v[vgprValuA_X0_I0+4+0+0:vgprValuA_X0_I0+4+0+0+1], a[56:63]
/*  mfmaIndex:7  */
/* localReadsVacancy: latencyLeft 5 */
_ds_load_b128 v[vgprValuA_X4_I0+0:vgprValuA_X4_I0+0+3], v[vgprLocalReadAddrA] offset:128 // L -> Reg lro=16 swapByteOffset=0 ti=128 vIdx=0 rIdx=0 oIdx=0 buffer=4 iui=0
v_mfma_f64_16x16x4_f64 a[48+0:55+0], v[vgprValuB_X0_I0+6+0+0:vgprValuB_X0_I0+6+0+0+1], v[vgprValuA_X0_I0+0+0+0:vgprValuA_X0_I0+0+0+0+1], a[48:55]
/*  mfmaIndex:8  */
/* localReadsVacancy: latencyLeft 5 */
_ds_load_b64 v[vgprValuB_X2_I0+0:vgprValuB_X2_I0+0+1], v[vgprLocalReadAddrB] offset:7168 // L -> Reg lro=896 swapByteOffset=0 ti=16 vIdx=0 rIdx=0 oIdx=0 buffer=2 iui=0
v_mfma_f64_16x16x4_f64 a[64+0:71+0], v[vgprValuB_X0_I0+8+0+0:vgprValuB_X0_I0+8+0+0+1], v[vgprValuA_X0_I0+0+0+0:vgprValuA_X0_I0+0+0+0+1], a[64:71]
/*  mfmaIndex:9  */
/* localReadsVacancy: latencyLeft 5 */
_ds_load_b128 v[vgprValuA_X4_I0+4:vgprValuA_X4_I0+4+3], v[vgprLocalReadAddrA] offset:384 // L -> Reg lro=16 swapByteOffset=0 ti=128 vIdx=0 rIdx=0 oIdx=0 buffer=4 iui=0
v_mfma_f64_16x16x4_f64 a[72+0:79+0], v[vgprValuB_X0_I0+8+0+0:vgprValuB_X0_I0+8+0+0+1], v[vgprValuA_X0_I0+4+0+0:vgprValuA_X0_I0+4+0+0+1], a[72:79]
/*  mfmaIndex:10  */
/* localReadsVacancy: latencyLeft 5 */
_ds_load_b64 v[vgprValuB_X2_I0+2:vgprValuB_X2_I0+2+1], v[vgprLocalReadAddrB] offset:7296 // L -> Reg lro=896 swapByteOffset=0 ti=16 vIdx=1 rIdx=0 oIdx=0 buffer=2 iui=0
_ds_load_b64 v[vgprValuB_X2_I0+4:vgprValuB_X2_I0+4+1], v[vgprLocalReadAddrB] offset:7424 // L -> Reg lro=896 swapByteOffset=0 ti=16 vIdx=2 rIdx=0 oIdx=0 buffer=2 iui=0
v_mfma_f64_16x16x4_f64 a[88+0:95+0], v[vgprValuB_X0_I0+10+0+0:vgprValuB_X0_I0+10+0+0+1], v[vgprValuA_X0_I0+4+0+0:vgprValuA_X0_I0+4+0+0+1], a[88:95]
/*  mfmaIndex:11  */
/* localReadsVacancy: latencyLeft 5 */
_ds_load_b64 v[vgprValuB_X2_I0+6:vgprValuB_X2_I0+6+1], v[vgprLocalReadAddrB] offset:7552 // L -> Reg lro=896 swapByteOffset=0 ti=16 vIdx=3 rIdx=0 oIdx=0 buffer=2 iui=0
_ds_load_b64 v[vgprValuB_X2_I0+8:vgprValuB_X2_I0+8+1], v[vgprLocalReadAddrB] offset:7680 // L -> Reg lro=896 swapByteOffset=0 ti=16 vIdx=4 rIdx=0 oIdx=0 buffer=2 iui=0
	;; [unrolled: 5-line block ×3, first 2 shown]
v_mfma_f64_16x16x4_f64 a[96+0:103+0], v[vgprValuB_X0_I0+12+0+0:vgprValuB_X0_I0+12+0+0+1], v[vgprValuA_X0_I0+0+0+0:vgprValuA_X0_I0+0+0+0+1], a[96:103]
/*  mfmaIndex:13  */
/* localReadsVacancy: latencyLeft 5 */
_ds_load_b128 v[vgprValuA_X6_I0+0:vgprValuA_X6_I0+0+3], v[vgprLocalReadAddrA] offset:192 // L -> Reg lro=24 swapByteOffset=0 ti=128 vIdx=0 rIdx=0 oIdx=0 buffer=6 iui=0
v_mfma_f64_16x16x4_f64 a[104+0:111+0], v[vgprValuB_X0_I0+12+0+0:vgprValuB_X0_I0+12+0+0+1], v[vgprValuA_X0_I0+4+0+0:vgprValuA_X0_I0+4+0+0+1], a[104:111]
/* numPrefetchIter=0 */
/* dataAtIterA=-1 numReadsIterA=1 skipReadsIterA=1 readsPerIterA=2 */
/* dataAtIterB=-1 numReadsIterB=1 skipReadsIterB=1 readsPerIterB=7 */


/* iter 1 */

/*  grEndMfmaIndex:4, lwStartMfmaIndex:37, lwEndMfmaIndex:101  */
/*  numMfmaForLR:8, barrierMfmaIndex:103, LocalWritePerMfma:0.220 */
/*  mfmaIndex:14  */
/* localReadsVacancy: latencyLeft 5 */
_ds_load_b64 v[vgprValuB_X3_I0+0:vgprValuB_X3_I0+0+1], v[vgprLocalReadAddrB] offset:8064 // L -> Reg lro=1008 swapByteOffset=0 ti=16 vIdx=0 rIdx=0 oIdx=0 buffer=3 iui=0
s_waitcnt lgkmcnt(11)                              // lgkmcnt=0 vmcnt=-1wait for prior local read local write old=9, new=9 newLW=0 newLR=0
v_mfma_f64_16x16x4_f64 a[0+0:7+0], v[vgprValuB_X1_I0+0+0+0:vgprValuB_X1_I0+0+0+0+1], v[vgprValuA_X0_I0+0+2+0:vgprValuA_X0_I0+0+2+0+1], a[0:7]
/*  mfmaIndex:15  */
/* localReadsVacancy: latencyLeft 5 */
_ds_load_b128 v[vgprValuA_X6_I0+4:vgprValuA_X6_I0+4+3], v[vgprLocalReadAddrA] offset:448 // L -> Reg lro=24 swapByteOffset=0 ti=128 vIdx=0 rIdx=0 oIdx=0 buffer=6 iui=0
v_mfma_f64_16x16x4_f64 a[8+0:15+0], v[vgprValuB_X1_I0+0+0+0:vgprValuB_X1_I0+0+0+0+1], v[vgprValuA_X0_I0+4+2+0:vgprValuA_X0_I0+4+2+0+1], a[8:15]
/*  mfmaIndex:16  */
/* localReadsVacancy: latencyLeft 5 */
_ds_load_b64 v[vgprValuB_X3_I0+2:vgprValuB_X3_I0+2+1], v[vgprLocalReadAddrB] offset:8192 // L -> Reg lro=1008 swapByteOffset=0 ti=16 vIdx=1 rIdx=0 oIdx=0 buffer=3 iui=0
_ds_load_b64 v[vgprValuB_X3_I0+4:vgprValuB_X3_I0+4+1], v[vgprLocalReadAddrB] offset:8320 // L -> Reg lro=1008 swapByteOffset=0 ti=16 vIdx=2 rIdx=0 oIdx=0 buffer=3 iui=0
v_mfma_f64_16x16x4_f64 a[24+0:31+0], v[vgprValuB_X1_I0+2+0+0:vgprValuB_X1_I0+2+0+0+1], v[vgprValuA_X0_I0+4+2+0:vgprValuA_X0_I0+4+2+0+1], a[24:31]
/*  mfmaIndex:17  */
/* localReadsVacancy: latencyLeft 5 */
_ds_load_b64 v[vgprValuB_X3_I0+6:vgprValuB_X3_I0+6+1], v[vgprLocalReadAddrB] offset:8448 // L -> Reg lro=1008 swapByteOffset=0 ti=16 vIdx=3 rIdx=0 oIdx=0 buffer=3 iui=0
_ds_load_b64 v[vgprValuB_X3_I0+8:vgprValuB_X3_I0+8+1], v[vgprLocalReadAddrB] offset:8576 // L -> Reg lro=1008 swapByteOffset=0 ti=16 vIdx=4 rIdx=0 oIdx=0 buffer=3 iui=0
	;; [unrolled: 5-line block ×3, first 2 shown]
v_mfma_f64_16x16x4_f64 a[32+0:39+0], v[vgprValuB_X1_I0+4+0+0:vgprValuB_X1_I0+4+0+0+1], v[vgprValuA_X0_I0+0+2+0:vgprValuA_X0_I0+0+2+0+1], a[32:39]
/*  mfmaIndex:19  */
/* localReadsVacancy: latencyLeft 5 */
_ds_load_b64 v[vgprValuB_X4_I0+0:vgprValuB_X4_I0+0+1], v[vgprLocalReadAddrB] offset:14336 // L -> Reg lro=1792 swapByteOffset=0 ti=16 vIdx=0 rIdx=0 oIdx=0 buffer=4 iui=0
_ds_load_b64 v[vgprValuB_X4_I0+2:vgprValuB_X4_I0+2+1], v[vgprLocalReadAddrB] offset:14464 // L -> Reg lro=1792 swapByteOffset=0 ti=16 vIdx=1 rIdx=0 oIdx=0 buffer=4 iui=0
v_mfma_f64_16x16x4_f64 a[40+0:47+0], v[vgprValuB_X1_I0+4+0+0:vgprValuB_X1_I0+4+0+0+1], v[vgprValuA_X0_I0+4+2+0:vgprValuA_X0_I0+4+2+0+1], a[40:47]
/*  mfmaIndex:20  */
/* localReadsVacancy: latencyLeft 5 */
_ds_load_b64 v[vgprValuB_X4_I0+4:vgprValuB_X4_I0+4+1], v[vgprLocalReadAddrB] offset:14592 // L -> Reg lro=1792 swapByteOffset=0 ti=16 vIdx=2 rIdx=0 oIdx=0 buffer=4 iui=0
_ds_load_b64 v[vgprValuB_X4_I0+6:vgprValuB_X4_I0+6+1], v[vgprLocalReadAddrB] offset:14720 // L -> Reg lro=1792 swapByteOffset=0 ti=16 vIdx=3 rIdx=0 oIdx=0 buffer=4 iui=0
	;; [unrolled: 5-line block ×3, first 2 shown]
v_mfma_f64_16x16x4_f64 a[48+0:55+0], v[vgprValuB_X1_I0+6+0+0:vgprValuB_X1_I0+6+0+0+1], v[vgprValuA_X0_I0+0+2+0:vgprValuA_X0_I0+0+2+0+1], a[48:55]
/*  mfmaIndex:22  */
/* localReadsVacancy: latencyLeft 5 */
_ds_load_b64 v[vgprValuB_X4_I0+12:vgprValuB_X4_I0+12+1], v[vgprLocalReadAddrB] offset:15104 // L -> Reg lro=1792 swapByteOffset=0 ti=16 vIdx=6 rIdx=0 oIdx=0 buffer=4 iui=0
_ds_load_b64 v[vgprValuB_X5_I0+0:vgprValuB_X5_I0+0+1], v[vgprLocalReadAddrB] offset:15232 // L -> Reg lro=1904 swapByteOffset=0 ti=16 vIdx=0 rIdx=0 oIdx=0 buffer=5 iui=0
v_mfma_f64_16x16x4_f64 a[64+0:71+0], v[vgprValuB_X1_I0+8+0+0:vgprValuB_X1_I0+8+0+0+1], v[vgprValuA_X0_I0+0+2+0:vgprValuA_X0_I0+0+2+0+1], a[64:71]
/*  mfmaIndex:23  */
/* localReadsVacancy: latencyLeft 5 */
_ds_load_b64 v[vgprValuB_X5_I0+2:vgprValuB_X5_I0+2+1], v[vgprLocalReadAddrB] offset:15360 // L -> Reg lro=1904 swapByteOffset=0 ti=16 vIdx=1 rIdx=0 oIdx=0 buffer=5 iui=0
_ds_load_b64 v[vgprValuB_X5_I0+4:vgprValuB_X5_I0+4+1], v[vgprLocalReadAddrB] offset:15488 // L -> Reg lro=1904 swapByteOffset=0 ti=16 vIdx=2 rIdx=0 oIdx=0 buffer=5 iui=0
v_mfma_f64_16x16x4_f64 a[72+0:79+0], v[vgprValuB_X1_I0+8+0+0:vgprValuB_X1_I0+8+0+0+1], v[vgprValuA_X0_I0+4+2+0:vgprValuA_X0_I0+4+2+0+1], a[72:79]
/*  mfmaIndex:24  */
/* localReadsVacancy: latencyLeft 5 */
_ds_load_b64 v[vgprValuB_X5_I0+6:vgprValuB_X5_I0+6+1], v[vgprLocalReadAddrB] offset:15616 // L -> Reg lro=1904 swapByteOffset=0 ti=16 vIdx=3 rIdx=0 oIdx=0 buffer=5 iui=0
	;; [unrolled: 5-line block ×3, first 2 shown]
_ds_load_b64 v[vgprValuB_X5_I0+12:vgprValuB_X5_I0+12+1], v[vgprLocalReadAddrB] offset:16000 // L -> Reg lro=1904 swapByteOffset=0 ti=16 vIdx=6 rIdx=0 oIdx=0 buffer=5 iui=0
v_mfma_f64_16x16x4_f64 a[80+0:87+0], v[vgprValuB_X1_I0+10+0+0:vgprValuB_X1_I0+10+0+0+1], v[vgprValuA_X0_I0+0+2+0:vgprValuA_X0_I0+0+2+0+1], a[80:87]
/*  mfmaIndex:26  */
/* localReadsVacancy: latencyLeft 5 */
_ds_load_b64 v[vgprValuB_X6_I0+0:vgprValuB_X6_I0+0+1], v[vgprLocalReadAddrB] offset:21504 // L -> Reg lro=2688 swapByteOffset=0 ti=16 vIdx=0 rIdx=0 oIdx=0 buffer=6 iui=0
_ds_load_b64 v[vgprValuB_X6_I0+2:vgprValuB_X6_I0+2+1], v[vgprLocalReadAddrB] offset:21632 // L -> Reg lro=2688 swapByteOffset=0 ti=16 vIdx=1 rIdx=0 oIdx=0 buffer=6 iui=0
v_mfma_f64_16x16x4_f64 a[96+0:103+0], v[vgprValuB_X1_I0+12+0+0:vgprValuB_X1_I0+12+0+0+1], v[vgprValuA_X0_I0+0+2+0:vgprValuA_X0_I0+0+2+0+1], a[96:103]
/*  mfmaIndex:27  */
/* localReadsVacancy: latencyLeft 5 */
_ds_load_b64 v[vgprValuB_X6_I0+4:vgprValuB_X6_I0+4+1], v[vgprLocalReadAddrB] offset:21760 // L -> Reg lro=2688 swapByteOffset=0 ti=16 vIdx=2 rIdx=0 oIdx=0 buffer=6 iui=0
_ds_load_b64 v[vgprValuB_X6_I0+6:vgprValuB_X6_I0+6+1], v[vgprLocalReadAddrB] offset:21888 // L -> Reg lro=2688 swapByteOffset=0 ti=16 vIdx=3 rIdx=0 oIdx=0 buffer=6 iui=0
v_mfma_f64_16x16x4_f64 a[104+0:111+0], v[vgprValuB_X1_I0+12+0+0:vgprValuB_X1_I0+12+0+0+1], v[vgprValuA_X0_I0+4+2+0:vgprValuA_X0_I0+4+2+0+1], a[104:111]
/* numPrefetchIter=0 */
/* dataAtIterA=-1 numReadsIterA=2 skipReadsIterA=0 readsPerIterA=2 */
/* dataAtIterB=0 numReadsIterB=2 skipReadsIterB=1 readsPerIterB=7 */


/* iter 2 */

/*  grEndMfmaIndex:4, lwStartMfmaIndex:37, lwEndMfmaIndex:101  */
/*  numMfmaForLR:8, barrierMfmaIndex:103, LocalWritePerMfma:0.220 */
/*  mfmaIndex:28  */
/* localReadsVacancy: latencyLeft 5 */
_ds_load_b64 v[vgprValuB_X6_I0+8:vgprValuB_X6_I0+8+1], v[vgprLocalReadAddrB] offset:22016 // L -> Reg lro=2688 swapByteOffset=0 ti=16 vIdx=4 rIdx=0 oIdx=0 buffer=6 iui=0
_ds_load_b64 v[vgprValuB_X6_I0+10:vgprValuB_X6_I0+10+1], v[vgprLocalReadAddrB] offset:22144 // L -> Reg lro=2688 swapByteOffset=0 ti=16 vIdx=5 rIdx=0 oIdx=0 buffer=6 iui=0
s_waitcnt lgkmcnt(15)                              // lgkmcnt=0 vmcnt=-1wait for prior local read local write old=8, new=8 newLW=0 newLR=0
v_mfma_f64_16x16x4_f64 a[0+0:7+0], v[vgprValuB_X2_I0+0+0+0:vgprValuB_X2_I0+0+0+0+1], v[vgprValuA_X2_I0+0+0+0:vgprValuA_X2_I0+0+0+0+1], a[0:7]
/*  mfmaIndex:29  */
/* localReadsVacancy: latencyLeft 5 */
_ds_load_b64 v[vgprValuB_X6_I0+12:vgprValuB_X6_I0+12+1], v[vgprLocalReadAddrB] offset:22272 // L -> Reg lro=2688 swapByteOffset=0 ti=16 vIdx=6 rIdx=0 oIdx=0 buffer=6 iui=0
_ds_load_b64 v[vgprValuB_X7_I0+0:vgprValuB_X7_I0+0+1], v[vgprLocalReadAddrB] offset:22400 // L -> Reg lro=2800 swapByteOffset=0 ti=16 vIdx=0 rIdx=0 oIdx=0 buffer=7 iui=0
v_mfma_f64_16x16x4_f64 a[8+0:15+0], v[vgprValuB_X2_I0+0+0+0:vgprValuB_X2_I0+0+0+0+1], v[vgprValuA_X2_I0+4+0+0:vgprValuA_X2_I0+4+0+0+1], a[8:15]
/*  mfmaIndex:30  */
/* localReadsVacancy: latencyLeft 5 */
_ds_load_b64 v[vgprValuB_X7_I0+2:vgprValuB_X7_I0+2+1], v[vgprLocalReadAddrB] offset:22528 // L -> Reg lro=2800 swapByteOffset=0 ti=16 vIdx=1 rIdx=0 oIdx=0 buffer=7 iui=0
_ds_load_b64 v[vgprValuB_X7_I0+4:vgprValuB_X7_I0+4+1], v[vgprLocalReadAddrB] offset:22656 // L -> Reg lro=2800 swapByteOffset=0 ti=16 vIdx=2 rIdx=0 oIdx=0 buffer=7 iui=0
v_mfma_f64_16x16x4_f64 a[24+0:31+0], v[vgprValuB_X2_I0+2+0+0:vgprValuB_X2_I0+2+0+0+1], v[vgprValuA_X2_I0+4+0+0:vgprValuA_X2_I0+4+0+0+1], a[24:31]
/*  mfmaIndex:31  */
/* localReadsVacancy: latencyLeft 5 */
_ds_load_b64 v[vgprValuB_X7_I0+6:vgprValuB_X7_I0+6+1], v[vgprLocalReadAddrB] offset:22784 // L -> Reg lro=2800 swapByteOffset=0 ti=16 vIdx=3 rIdx=0 oIdx=0 buffer=7 iui=0
	;; [unrolled: 5-line block ×3, first 2 shown]
_ds_load_b64 v[vgprValuB_X7_I0+12:vgprValuB_X7_I0+12+1], v[vgprLocalReadAddrB] offset:23168 // L -> Reg lro=2800 swapByteOffset=0 ti=16 vIdx=6 rIdx=0 oIdx=0 buffer=7 iui=0
v_mfma_f64_16x16x4_f64 a[32+0:39+0], v[vgprValuB_X2_I0+4+0+0:vgprValuB_X2_I0+4+0+0+1], v[vgprValuA_X2_I0+0+0+0:vgprValuA_X2_I0+0+0+0+1], a[32:39]
/*  mfmaIndex:33  */
/* localReadsVacancy: latencyLeft 5 */
v_mfma_f64_16x16x4_f64 a[40+0:47+0], v[vgprValuB_X2_I0+4+0+0:vgprValuB_X2_I0+4+0+0+1], v[vgprValuA_X2_I0+4+0+0:vgprValuA_X2_I0+4+0+0+1], a[40:47]
/*  mfmaIndex:34  */
/* localReadsVacancy: latencyLeft 5 */
	;; [unrolled: 3-line block ×4, first 2 shown]
/* 1 LDS buffer: read-sync-write */
s_waitcnt lgkmcnt(0)                               // 
s_barrier                                          // 
v_mfma_f64_16x16x4_f64 a[64+0:71+0], v[vgprValuB_X2_I0+8+0+0:vgprValuB_X2_I0+8+0+0+1], v[vgprValuA_X2_I0+0+0+0:vgprValuA_X2_I0+0+0+0+1], a[64:71]
/*  mfmaIndex:37  */
/* sched write - iter 2 writesPerItem=1 */
s_waitcnt vmcnt(0)                                 // lgkmcnt=-1 vmcnt=0wait for global read before writing to local
_ds_store_b128 v[vgprLocalWriteAddrA], v[vgprG2LA+0:vgprG2LA+0+3] offset:0 // lwoA_0_0_0_0 = (0*LSCA)*(MT0I+PAD) + (0*LSPA) = 0
v_mfma_f64_16x16x4_f64 a[72+0:79+0], v[vgprValuB_X2_I0+8+0+0:vgprValuB_X2_I0+8+0+0+1], v[vgprValuA_X2_I0+4+0+0:vgprValuA_X2_I0+4+0+0+1], a[72:79]
/*  mfmaIndex:38  */
v_mfma_f64_16x16x4_f64 a[88+0:95+0], v[vgprValuB_X2_I0+10+0+0:vgprValuB_X2_I0+10+0+0+1], v[vgprValuA_X2_I0+4+0+0:vgprValuA_X2_I0+4+0+0+1], a[88:95]
/*  mfmaIndex:39  */
	;; [unrolled: 2-line block ×4, first 2 shown]
/* sched write - iter 2 writesPerItem=1 */
s_waitcnt vmcnt(0)                                 // lgkmcnt=-1 vmcnt=0wait for global read before writing to local
_ds_store_b128 v[vgprLocalWriteAddrA], v[vgprG2LA+4:vgprG2LA+4+3] offset:4352 // lwoA_0_0_1_0 = (0*LSCA)*(MT0I+PAD) + (1*LSPA) = 4352
v_mfma_f64_16x16x4_f64 a[104+0:111+0], v[vgprValuB_X2_I0+12+0+0:vgprValuB_X2_I0+12+0+0+1], v[vgprValuA_X2_I0+4+0+0:vgprValuA_X2_I0+4+0+0+1], a[104:111]
/* numPrefetchIter=0 */
/* dataAtIterA=0 numReadsIterA=3 skipReadsIterA=0 readsPerIterA=2 */
/* dataAtIterB=1 numReadsIterB=3 skipReadsIterB=1 readsPerIterB=7 */


/* iter 3 */

/*  grEndMfmaIndex:4, lwStartMfmaIndex:37, lwEndMfmaIndex:101  */
/*  numMfmaForLR:8, barrierMfmaIndex:103, LocalWritePerMfma:0.220 */
/*  mfmaIndex:42  */
v_mfma_f64_16x16x4_f64 a[0+0:7+0], v[vgprValuB_X3_I0+0+0+0:vgprValuB_X3_I0+0+0+0+1], v[vgprValuA_X2_I0+0+2+0:vgprValuA_X2_I0+0+2+0+1], a[0:7]
/*  mfmaIndex:43  */
v_mfma_f64_16x16x4_f64 a[8+0:15+0], v[vgprValuB_X3_I0+0+0+0:vgprValuB_X3_I0+0+0+0+1], v[vgprValuA_X2_I0+4+2+0:vgprValuA_X2_I0+4+2+0+1], a[8:15]
/*  mfmaIndex:44  */
v_mfma_f64_16x16x4_f64 a[24+0:31+0], v[vgprValuB_X3_I0+2+0+0:vgprValuB_X3_I0+2+0+0+1], v[vgprValuA_X2_I0+4+2+0:vgprValuA_X2_I0+4+2+0+1], a[24:31]
/*  mfmaIndex:45  */
v_mfma_f64_16x16x4_f64 a[16+0:23+0], v[vgprValuB_X3_I0+2+0+0:vgprValuB_X3_I0+2+0+0+1], v[vgprValuA_X2_I0+0+2+0:vgprValuA_X2_I0+0+2+0+1], a[16:23]
/*  mfmaIndex:46  */
/* sched write - iter 3 writesPerItem=1 */
s_waitcnt vmcnt(0)                                 // lgkmcnt=-1 vmcnt=0wait for global read before writing to local
_ds_store_b128 v[vgprLocalWriteAddrA], v[vgprG2LA+8:vgprG2LA+8+3] offset:8704 // lwoA_0_0_2_0 = (0*LSCA)*(MT0I+PAD) + (2*LSPA) = 8704
v_mfma_f64_16x16x4_f64 a[32+0:39+0], v[vgprValuB_X3_I0+4+0+0:vgprValuB_X3_I0+4+0+0+1], v[vgprValuA_X2_I0+0+2+0:vgprValuA_X2_I0+0+2+0+1], a[32:39]
/*  mfmaIndex:47  */
v_mfma_f64_16x16x4_f64 a[40+0:47+0], v[vgprValuB_X3_I0+4+0+0:vgprValuB_X3_I0+4+0+0+1], v[vgprValuA_X2_I0+4+2+0:vgprValuA_X2_I0+4+2+0+1], a[40:47]
/*  mfmaIndex:48  */
	;; [unrolled: 2-line block ×4, first 2 shown]
/* sched write - iter 3 writesPerItem=1 */
s_waitcnt vmcnt(0)                                 // lgkmcnt=-1 vmcnt=0wait for global read before writing to local
_ds_store_b128 v[vgprLocalWriteAddrA], v[vgprG2LA+12:vgprG2LA+12+3] offset:13056 // lwoA_0_0_3_0 = (0*LSCA)*(MT0I+PAD) + (3*LSPA) = 13056
v_mfma_f64_16x16x4_f64 a[64+0:71+0], v[vgprValuB_X3_I0+8+0+0:vgprValuB_X3_I0+8+0+0+1], v[vgprValuA_X2_I0+0+2+0:vgprValuA_X2_I0+0+2+0+1], a[64:71]
/*  mfmaIndex:51  */
v_mfma_f64_16x16x4_f64 a[72+0:79+0], v[vgprValuB_X3_I0+8+0+0:vgprValuB_X3_I0+8+0+0+1], v[vgprValuA_X2_I0+4+2+0:vgprValuA_X2_I0+4+2+0+1], a[72:79]
/*  mfmaIndex:52  */
	;; [unrolled: 2-line block ×5, first 2 shown]
/* sched write - iter 3 writesPerItem=1 */
s_waitcnt vmcnt(0)                                 // lgkmcnt=-1 vmcnt=0wait for global read before writing to local
_ds_store_b128 v[vgprLocalWriteAddrA], v[vgprG2LA+16:vgprG2LA+16+3] offset:17408 // lwoA_0_0_4_0 = (0*LSCA)*(MT0I+PAD) + (4*LSPA) = 17408
v_mfma_f64_16x16x4_f64 a[104+0:111+0], v[vgprValuB_X3_I0+12+0+0:vgprValuB_X3_I0+12+0+0+1], v[vgprValuA_X2_I0+4+2+0:vgprValuA_X2_I0+4+2+0+1], a[104:111]


/* iter 4 */

/*  grEndMfmaIndex:4, lwStartMfmaIndex:37, lwEndMfmaIndex:101  */
/*  numMfmaForLR:8, barrierMfmaIndex:103, LocalWritePerMfma:0.220 */
/*  mfmaIndex:56  */
v_mfma_f64_16x16x4_f64 a[0+0:7+0], v[vgprValuB_X4_I0+0+0+0:vgprValuB_X4_I0+0+0+0+1], v[vgprValuA_X4_I0+0+0+0:vgprValuA_X4_I0+0+0+0+1], a[0:7]
/*  mfmaIndex:57  */
v_mfma_f64_16x16x4_f64 a[8+0:15+0], v[vgprValuB_X4_I0+0+0+0:vgprValuB_X4_I0+0+0+0+1], v[vgprValuA_X4_I0+4+0+0:vgprValuA_X4_I0+4+0+0+1], a[8:15]
	;; [unrolled: 2-line block ×3, first 2 shown]
/*  mfmaIndex:59  */
/* sched write - iter 4 writesPerItem=1 */
s_waitcnt vmcnt(0)                                 // lgkmcnt=-1 vmcnt=0wait for global read before writing to local
_ds_store_b128 v[vgprLocalWriteAddrA], v[vgprG2LA+20:vgprG2LA+20+3] offset:21760 // lwoA_0_0_5_0 = (0*LSCA)*(MT0I+PAD) + (5*LSPA) = 21760
v_mfma_f64_16x16x4_f64 a[16+0:23+0], v[vgprValuB_X4_I0+2+0+0:vgprValuB_X4_I0+2+0+0+1], v[vgprValuA_X4_I0+0+0+0:vgprValuA_X4_I0+0+0+0+1], a[16:23]
/*  mfmaIndex:60  */
v_mfma_f64_16x16x4_f64 a[32+0:39+0], v[vgprValuB_X4_I0+4+0+0:vgprValuB_X4_I0+4+0+0+1], v[vgprValuA_X4_I0+0+0+0:vgprValuA_X4_I0+0+0+0+1], a[32:39]
/*  mfmaIndex:61  */
	;; [unrolled: 2-line block ×5, first 2 shown]
/* sched write - iter 4 writesPerItem=1 */
s_waitcnt vmcnt(0)                                 // lgkmcnt=-1 vmcnt=0wait for global read before writing to local
_ds_store_b128 v[vgprLocalWriteAddrA], v[vgprG2LA+24:vgprG2LA+24+3] offset:26112 // lwoA_0_0_6_0 = (0*LSCA)*(MT0I+PAD) + (6*LSPA) = 26112
v_mfma_f64_16x16x4_f64 a[64+0:71+0], v[vgprValuB_X4_I0+8+0+0:vgprValuB_X4_I0+8+0+0+1], v[vgprValuA_X4_I0+0+0+0:vgprValuA_X4_I0+0+0+0+1], a[64:71]
/*  mfmaIndex:65  */
v_mfma_f64_16x16x4_f64 a[72+0:79+0], v[vgprValuB_X4_I0+8+0+0:vgprValuB_X4_I0+8+0+0+1], v[vgprValuA_X4_I0+4+0+0:vgprValuA_X4_I0+4+0+0+1], a[72:79]
/*  mfmaIndex:66  */
	;; [unrolled: 2-line block ×4, first 2 shown]
/* sched write - iter 4 writesPerItem=1 */
s_waitcnt vmcnt(0)                                 // lgkmcnt=-1 vmcnt=0wait for global read before writing to local
_ds_store_b128 v[vgprLocalWriteAddrA], v[vgprG2LA+28:vgprG2LA+28+3] offset:30464 // lwoA_0_0_7_0 = (0*LSCA)*(MT0I+PAD) + (7*LSPA) = 30464
v_mfma_f64_16x16x4_f64 a[96+0:103+0], v[vgprValuB_X4_I0+12+0+0:vgprValuB_X4_I0+12+0+0+1], v[vgprValuA_X4_I0+0+0+0:vgprValuA_X4_I0+0+0+0+1], a[96:103]
/*  mfmaIndex:69  */
v_mfma_f64_16x16x4_f64 a[104+0:111+0], v[vgprValuB_X4_I0+12+0+0:vgprValuB_X4_I0+12+0+0+1], v[vgprValuA_X4_I0+4+0+0:vgprValuA_X4_I0+4+0+0+1], a[104:111]


/* iter 5 */

/*  grEndMfmaIndex:4, lwStartMfmaIndex:37, lwEndMfmaIndex:101  */
/*  numMfmaForLR:8, barrierMfmaIndex:103, LocalWritePerMfma:0.220 */
/*  mfmaIndex:70  */
v_mfma_f64_16x16x4_f64 a[0+0:7+0], v[vgprValuB_X5_I0+0+0+0:vgprValuB_X5_I0+0+0+0+1], v[vgprValuA_X4_I0+0+2+0:vgprValuA_X4_I0+0+2+0+1], a[0:7]
/*  mfmaIndex:71  */
v_mfma_f64_16x16x4_f64 a[8+0:15+0], v[vgprValuB_X5_I0+0+0+0:vgprValuB_X5_I0+0+0+0+1], v[vgprValuA_X4_I0+4+2+0:vgprValuA_X4_I0+4+2+0+1], a[8:15]
/*  mfmaIndex:72  */
v_mfma_f64_16x16x4_f64 a[24+0:31+0], v[vgprValuB_X5_I0+2+0+0:vgprValuB_X5_I0+2+0+0+1], v[vgprValuA_X4_I0+4+2+0:vgprValuA_X4_I0+4+2+0+1], a[24:31]
/*  mfmaIndex:73  */
/* sched write - iter 5 writesPerItem=1 */
s_waitcnt vmcnt(0)                                 // lgkmcnt=-1 vmcnt=0wait for global read before writing to local
_ds_store_b128 v[vgprLocalWriteAddrB], v[vgprG2LB+0:vgprG2LB+0+3] offset:0 // lwoB_0_0_0_0 = (0*LSCB) + (0*LSPB)(*MT1J+PAD) = 0
v_mfma_f64_16x16x4_f64 a[16+0:23+0], v[vgprValuB_X5_I0+2+0+0:vgprValuB_X5_I0+2+0+0+1], v[vgprValuA_X4_I0+0+2+0:vgprValuA_X4_I0+0+2+0+1], a[16:23]
/*  mfmaIndex:74  */
v_mfma_f64_16x16x4_f64 a[32+0:39+0], v[vgprValuB_X5_I0+4+0+0:vgprValuB_X5_I0+4+0+0+1], v[vgprValuA_X4_I0+0+2+0:vgprValuA_X4_I0+0+2+0+1], a[32:39]
/*  mfmaIndex:75  */
	;; [unrolled: 2-line block ×4, first 2 shown]
/* sched write - iter 5 writesPerItem=1 */
s_waitcnt vmcnt(0)                                 // lgkmcnt=-1 vmcnt=0wait for global read before writing to local
_ds_store_b128 v[vgprLocalWriteAddrB], v[vgprG2LB+4:vgprG2LB+4+3] offset:128 // lwoB_1_0_0_0 = (1*LSCB) + (0*LSPB)(*MT1J+PAD) = 128
v_mfma_f64_16x16x4_f64 a[48+0:55+0], v[vgprValuB_X5_I0+6+0+0:vgprValuB_X5_I0+6+0+0+1], v[vgprValuA_X4_I0+0+2+0:vgprValuA_X4_I0+0+2+0+1], a[48:55]
/*  mfmaIndex:78  */
v_mfma_f64_16x16x4_f64 a[64+0:71+0], v[vgprValuB_X5_I0+8+0+0:vgprValuB_X5_I0+8+0+0+1], v[vgprValuA_X4_I0+0+2+0:vgprValuA_X4_I0+0+2+0+1], a[64:71]
/*  mfmaIndex:79  */
	;; [unrolled: 2-line block ×5, first 2 shown]
/* sched write - iter 5 writesPerItem=1 */
s_waitcnt vmcnt(0)                                 // lgkmcnt=-1 vmcnt=0wait for global read before writing to local
_ds_store_b128 v[vgprLocalWriteAddrB], v[vgprG2LB+8:vgprG2LB+8+3] offset:256 // lwoB_2_0_0_0 = (2*LSCB) + (0*LSPB)(*MT1J+PAD) = 256
v_mfma_f64_16x16x4_f64 a[96+0:103+0], v[vgprValuB_X5_I0+12+0+0:vgprValuB_X5_I0+12+0+0+1], v[vgprValuA_X4_I0+0+2+0:vgprValuA_X4_I0+0+2+0+1], a[96:103]
/*  mfmaIndex:83  */
v_mfma_f64_16x16x4_f64 a[104+0:111+0], v[vgprValuB_X5_I0+12+0+0:vgprValuB_X5_I0+12+0+0+1], v[vgprValuA_X4_I0+4+2+0:vgprValuA_X4_I0+4+2+0+1], a[104:111]


/* iter 6 (reset local read pointers iteration)  (swap local read pointers iteration)  */

/*  grEndMfmaIndex:4, lwStartMfmaIndex:37, lwEndMfmaIndex:101  */
/*  numMfmaForLR:8, barrierMfmaIndex:103, LocalWritePerMfma:0.220 */
/*  mfmaIndex:84  */
v_mfma_f64_16x16x4_f64 a[0+0:7+0], v[vgprValuB_X6_I0+0+0+0:vgprValuB_X6_I0+0+0+0+1], v[vgprValuA_X6_I0+0+0+0:vgprValuA_X6_I0+0+0+0+1], a[0:7]
/*  mfmaIndex:85  */
v_mfma_f64_16x16x4_f64 a[8+0:15+0], v[vgprValuB_X6_I0+0+0+0:vgprValuB_X6_I0+0+0+0+1], v[vgprValuA_X6_I0+4+0+0:vgprValuA_X6_I0+4+0+0+1], a[8:15]
	;; [unrolled: 2-line block ×3, first 2 shown]
/*  mfmaIndex:87  */
/* sched write - iter 6 writesPerItem=1 */
s_waitcnt vmcnt(0)                                 // lgkmcnt=-1 vmcnt=0wait for global read before writing to local
_ds_store_b128 v[vgprLocalWriteAddrB], v[vgprG2LB+12:vgprG2LB+12+3] offset:384 // lwoB_3_0_0_0 = (3*LSCB) + (0*LSPB)(*MT1J+PAD) = 384
v_mfma_f64_16x16x4_f64 a[16+0:23+0], v[vgprValuB_X6_I0+2+0+0:vgprValuB_X6_I0+2+0+0+1], v[vgprValuA_X6_I0+0+0+0:vgprValuA_X6_I0+0+0+0+1], a[16:23]
/*  mfmaIndex:88  */
v_mfma_f64_16x16x4_f64 a[32+0:39+0], v[vgprValuB_X6_I0+4+0+0:vgprValuB_X6_I0+4+0+0+1], v[vgprValuA_X6_I0+0+0+0:vgprValuA_X6_I0+0+0+0+1], a[32:39]
/*  mfmaIndex:89  */
	;; [unrolled: 2-line block ×4, first 2 shown]
/* sched write - iter 6 writesPerItem=1 */
s_waitcnt vmcnt(0)                                 // lgkmcnt=-1 vmcnt=0wait for global read before writing to local
_ds_store_b128 v[vgprLocalWriteAddrB], v[vgprG2LB+16:vgprG2LB+16+3] offset:512 // lwoB_4_0_0_0 = (4*LSCB) + (0*LSPB)(*MT1J+PAD) = 512
v_mfma_f64_16x16x4_f64 a[48+0:55+0], v[vgprValuB_X6_I0+6+0+0:vgprValuB_X6_I0+6+0+0+1], v[vgprValuA_X6_I0+0+0+0:vgprValuA_X6_I0+0+0+0+1], a[48:55]
/*  mfmaIndex:92  */
v_mfma_f64_16x16x4_f64 a[64+0:71+0], v[vgprValuB_X6_I0+8+0+0:vgprValuB_X6_I0+8+0+0+1], v[vgprValuA_X6_I0+0+0+0:vgprValuA_X6_I0+0+0+0+1], a[64:71]
/*  mfmaIndex:93  */
	;; [unrolled: 2-line block ×5, first 2 shown]
/* sched write - iter 6 writesPerItem=1 */
s_waitcnt vmcnt(0)                                 // lgkmcnt=-1 vmcnt=0wait for global read before writing to local
_ds_store_b128 v[vgprLocalWriteAddrB], v[vgprG2LB+20:vgprG2LB+20+3] offset:640 // lwoB_5_0_0_0 = (5*LSCB) + (0*LSPB)(*MT1J+PAD) = 640
v_mfma_f64_16x16x4_f64 a[96+0:103+0], v[vgprValuB_X6_I0+12+0+0:vgprValuB_X6_I0+12+0+0+1], v[vgprValuA_X6_I0+0+0+0:vgprValuA_X6_I0+0+0+0+1], a[96:103]
/*  mfmaIndex:97  */

/* local read swap offsets a */

/* local read swap offsets b */

/* local read init pointers a */

/* localReadInitPointers */

/* local read init pointers b */

/* localReadInitPointers */
v_mfma_f64_16x16x4_f64 a[104+0:111+0], v[vgprValuB_X6_I0+12+0+0:vgprValuB_X6_I0+12+0+0+1], v[vgprValuA_X6_I0+4+0+0:vgprValuA_X6_I0+4+0+0+1], a[104:111]


/* iter 7 (swap and reset local write pointers iteration)  */

/*  grEndMfmaIndex:4, lwStartMfmaIndex:37, lwEndMfmaIndex:101  */
/*  numMfmaForLR:8, barrierMfmaIndex:103, LocalWritePerMfma:0.220 */
/*  mfmaIndex:98  */
v_mfma_f64_16x16x4_f64 a[0+0:7+0], v[vgprValuB_X7_I0+0+0+0:vgprValuB_X7_I0+0+0+0+1], v[vgprValuA_X6_I0+0+2+0:vgprValuA_X6_I0+0+2+0+1], a[0:7]
/*  mfmaIndex:99  */
v_mfma_f64_16x16x4_f64 a[8+0:15+0], v[vgprValuB_X7_I0+0+0+0:vgprValuB_X7_I0+0+0+0+1], v[vgprValuA_X6_I0+4+2+0:vgprValuA_X6_I0+4+2+0+1], a[8:15]
/*  mfmaIndex:100  */
/* sched write - iter 7 writesPerItem=1 */
s_waitcnt vmcnt(0)                                 // lgkmcnt=-1 vmcnt=0wait for global read before writing to local
_ds_store_b128 v[vgprLocalWriteAddrB], v[vgprG2LB+24:vgprG2LB+24+3] offset:768 // lwoB_6_0_0_0 = (6*LSCB) + (0*LSPB)(*MT1J+PAD) = 768
v_mfma_f64_16x16x4_f64 a[24+0:31+0], v[vgprValuB_X7_I0+2+0+0:vgprValuB_X7_I0+2+0+0+1], v[vgprValuA_X6_I0+4+2+0:vgprValuA_X6_I0+4+2+0+1], a[24:31]
/*  mfmaIndex:101  */

/* local write swap offsets a */

/* local write swap offsets b */
v_mfma_f64_16x16x4_f64 a[16+0:23+0], v[vgprValuB_X7_I0+2+0+0:vgprValuB_X7_I0+2+0+0+1], v[vgprValuA_X6_I0+0+2+0:vgprValuA_X6_I0+0+2+0+1], a[16:23]
/*  mfmaIndex:102  */
v_mfma_f64_16x16x4_f64 a[32+0:39+0], v[vgprValuB_X7_I0+4+0+0:vgprValuB_X7_I0+4+0+0+1], v[vgprValuA_X6_I0+0+2+0:vgprValuA_X6_I0+0+2+0+1], a[32:39]
/*  mfmaIndex:103  */
s_waitcnt lgkmcnt(0)                               // lgkmcnt=0 vmcnt=-13wait for local write
// Skip force waitcnt0
s_barrier //
v_mfma_f64_16x16x4_f64 a[40+0:47+0], v[vgprValuB_X7_I0+4+0+0:vgprValuB_X7_I0+4+0+0+1], v[vgprValuA_X6_I0+4+2+0:vgprValuA_X6_I0+4+2+0+1], a[40:47]
/*  mfmaIndex:104  */
_ds_load_b128 v[vgprValuA_X0_I0+0:vgprValuA_X0_I0+0+3], v[vgprLocalReadAddrA] offset:0 // L -> Reg lro=0 swapByteOffset=0 ti=128 vIdx=0 rIdx=0 oIdx=0 buffer=0 iui=0
v_mfma_f64_16x16x4_f64 a[56+0:63+0], v[vgprValuB_X7_I0+6+0+0:vgprValuB_X7_I0+6+0+0+1], v[vgprValuA_X6_I0+4+2+0:vgprValuA_X6_I0+4+2+0+1], a[56:63]
/*  mfmaIndex:105  */
_ds_load_b64 v[vgprValuB_X0_I0+0:vgprValuB_X0_I0+0+1], v[vgprLocalReadAddrB] offset:0 // L -> Reg lro=0 swapByteOffset=0 ti=16 vIdx=0 rIdx=0 oIdx=0 buffer=0 iui=0
v_mfma_f64_16x16x4_f64 a[48+0:55+0], v[vgprValuB_X7_I0+6+0+0:vgprValuB_X7_I0+6+0+0+1], v[vgprValuA_X6_I0+0+2+0:vgprValuA_X6_I0+0+2+0+1], a[48:55]
/*  mfmaIndex:106  */
_ds_load_b128 v[vgprValuA_X0_I0+4:vgprValuA_X0_I0+4+3], v[vgprLocalReadAddrA] offset:256 // L -> Reg lro=0 swapByteOffset=0 ti=128 vIdx=0 rIdx=0 oIdx=0 buffer=0 iui=0
v_mfma_f64_16x16x4_f64 a[64+0:71+0], v[vgprValuB_X7_I0+8+0+0:vgprValuB_X7_I0+8+0+0+1], v[vgprValuA_X6_I0+0+2+0:vgprValuA_X6_I0+0+2+0+1], a[64:71]
/*  mfmaIndex:107  */
_ds_load_b64 v[vgprValuB_X0_I0+2:vgprValuB_X0_I0+2+1], v[vgprLocalReadAddrB] offset:128 // L -> Reg lro=0 swapByteOffset=0 ti=16 vIdx=1 rIdx=0 oIdx=0 buffer=0 iui=0
_ds_load_b64 v[vgprValuB_X0_I0+4:vgprValuB_X0_I0+4+1], v[vgprLocalReadAddrB] offset:256 // L -> Reg lro=0 swapByteOffset=0 ti=16 vIdx=2 rIdx=0 oIdx=0 buffer=0 iui=0
v_mfma_f64_16x16x4_f64 a[72+0:79+0], v[vgprValuB_X7_I0+8+0+0:vgprValuB_X7_I0+8+0+0+1], v[vgprValuA_X6_I0+4+2+0:vgprValuA_X6_I0+4+2+0+1], a[72:79]
/*  mfmaIndex:108  */
_ds_load_b64 v[vgprValuB_X0_I0+6:vgprValuB_X0_I0+6+1], v[vgprLocalReadAddrB] offset:384 // L -> Reg lro=0 swapByteOffset=0 ti=16 vIdx=3 rIdx=0 oIdx=0 buffer=0 iui=0
_ds_load_b64 v[vgprValuB_X0_I0+8:vgprValuB_X0_I0+8+1], v[vgprLocalReadAddrB] offset:512 // L -> Reg lro=0 swapByteOffset=0 ti=16 vIdx=4 rIdx=0 oIdx=0 buffer=0 iui=0
	;; [unrolled: 4-line block ×3, first 2 shown]
v_mfma_f64_16x16x4_f64 a[80+0:87+0], v[vgprValuB_X7_I0+10+0+0:vgprValuB_X7_I0+10+0+0+1], v[vgprValuA_X6_I0+0+2+0:vgprValuA_X6_I0+0+2+0+1], a[80:87]
/*  mfmaIndex:110  */
v_mfma_f64_16x16x4_f64 a[96+0:103+0], v[vgprValuB_X7_I0+12+0+0:vgprValuB_X7_I0+12+0+0+1], v[vgprValuA_X6_I0+0+2+0:vgprValuA_X6_I0+0+2+0+1], a[96:103]
/*  mfmaIndex:111  */
v_mfma_f64_16x16x4_f64 a[104+0:111+0], v[vgprValuB_X7_I0+12+0+0:vgprValuB_X7_I0+12+0+0+1], v[vgprValuA_X6_I0+4+2+0:vgprValuA_X6_I0+4+2+0+1], a[104:111]

label_0014:


/******************************************/
/* Opt. NoLoadLoop Without PAP - Begin                                      */
/******************************************/

s_mov_b32 s32, s[sgprBeta+0]                       // tmp = Beta[0]
s_or_b32 s32, s[sgprBeta+1], s32                   // tmp |= Beta[1] 
s_cmpk_eq_u32 s32, 0x0                             // Beta == 0
s_cbranch_scc0 OptNLL_End_17                       // Branch if Beta is not zero

s_mov_b32 s32, 0                                   // Low part of double 1.0
s_mov_b32 s33, 0x3ff00000                          // High part of double 1.0
s_cmp_eq_u64 s[sgprAlpha:sgprAlpha+1], s[32:33]    // Alpha == 1.0 ?
s_cbranch_scc0 OptNLL_End_17                       // branch if alpha != 1

s_and_b32 s32, 127, s[sgprSizeI]                   // s32 = s[sgprSizeI] % 128
s_add_u32 s33, -0x1, s[sgprNumWorkGroups0]         // 
s_cmp_ge_u32 s[sgprWorkGroup0], s33                // wg0 >= nwg0-1 ?
s_cselect_b32 s32, s32, 0                          // set rMT0
s_cmpk_gt_u32 s32, 0x0                             // rMT0 > 0
s_cbranch_scc1 OptNLL_End_17                       // jump if edges required
s_mov_b32 s35, 0x0                                 // STATIC_DIV: divisior=112
s_mul_i32 s34, 0x492, s[sgprSizeJ]                 // tmp1 = dividend * magic hi
s_lshl_b64 s[34:35], s[34:35], 0x10                // left shift 16 bits
s_mul_i32 s33, s[sgprSizeJ], 0x4925                // tmp0 = dividend * magic lo
s_add_u32 s34, s33, s34                            // add lo
s_addc_u32 s35, s35, 0x0                           // add hi
s_lshr_b64 s[34:35], s[34:35], 0x21                // tmp1 = (dividend * magic) << shift
s_mov_b32 s33, s34                                 // quotient
s_mul_i32 s34, s33, 0x70                           // quotient*divisor
s_sub_u32 s32, s[sgprSizeJ], s34                   // rReg = dividend - quotient*divisor
s_add_u32 s33, -0x1, s[sgprNumWorkGroups1]         // 
s_cmp_ge_u32 s[sgprWorkGroup1], s33                // wg1 >= nwg1-1
s_cselect_b32 s32, s32, 0                          // set rMT1
s_cmpk_gt_u32 s32, 0x0                             // rMT1 > 0
s_cbranch_scc1 OptNLL_End_17                       // jump if edges required

s_and_b32 s33, 31, s[sgprSizesSum+0]               // s33 = s[sgprSizesSum+0] % 32
s_cmp_eq_u32 s33, 0x0                              // numIterL == 0
s_cbranch_scc0 OptNLL_End_17                       // skip if tail loop required


	;; [unrolled: 1-line block ×3, first 2 shown]
/* iter 0 (last unrolled loop) */

/*  grEndMfmaIndex:0, lwStartMfmaIndex:101, lwEndMfmaIndex:101  */
/*  numMfmaForLR:8, barrierMfmaIndex:103, LocalWritePerMfma:0.220 */
/*  mfmaIndex:0  */
s_waitcnt lgkmcnt(0)                               // lgkmcnt=0 vmcnt=-1wait for prior local read local write old=0, new=0 newLW=0 newLR=0
v_mfma_f64_16x16x4_f64 a[0+0:7+0], v[vgprValuB_X0_I0+0+0+0:vgprValuB_X0_I0+0+0+0+1], v[vgprValuA_X0_I0+0+0+0:vgprValuA_X0_I0+0+0+0+1], a[0:7]
/*  mfmaIndex:1  */
_ds_load_b128 v[vgprValuA_X2_I0+0:vgprValuA_X2_I0+0+3], v[vgprLocalReadAddrA] offset:64 // L -> Reg lro=8 swapByteOffset=0 ti=128 vIdx=0 rIdx=0 oIdx=0 buffer=2 iui=0
v_mfma_f64_16x16x4_f64 a[8+0:15+0], v[vgprValuB_X0_I0+0+0+0:vgprValuB_X0_I0+0+0+0+1], v[vgprValuA_X0_I0+4+0+0:vgprValuA_X0_I0+4+0+0+1], a[8:15]
/*  mfmaIndex:2  */
_ds_load_b64 v[vgprValuB_X1_I0+0:vgprValuB_X1_I0+0+1], v[vgprLocalReadAddrB] offset:896 // L -> Reg lro=112 swapByteOffset=0 ti=16 vIdx=0 rIdx=0 oIdx=0 buffer=1 iui=0
v_mfma_f64_16x16x4_f64 a[24+0:31+0], v[vgprValuB_X0_I0+2+0+0:vgprValuB_X0_I0+2+0+0+1], v[vgprValuA_X0_I0+4+0+0:vgprValuA_X0_I0+4+0+0+1], a[24:31]
/*  mfmaIndex:3  */
_ds_load_b128 v[vgprValuA_X2_I0+4:vgprValuA_X2_I0+4+3], v[vgprLocalReadAddrA] offset:320 // L -> Reg lro=8 swapByteOffset=0 ti=128 vIdx=0 rIdx=0 oIdx=0 buffer=2 iui=0
v_mfma_f64_16x16x4_f64 a[16+0:23+0], v[vgprValuB_X0_I0+2+0+0:vgprValuB_X0_I0+2+0+0+1], v[vgprValuA_X0_I0+0+0+0:vgprValuA_X0_I0+0+0+0+1], a[16:23]
/*  mfmaIndex:4  */
_ds_load_b64 v[vgprValuB_X1_I0+2:vgprValuB_X1_I0+2+1], v[vgprLocalReadAddrB] offset:1024 // L -> Reg lro=112 swapByteOffset=0 ti=16 vIdx=1 rIdx=0 oIdx=0 buffer=1 iui=0
_ds_load_b64 v[vgprValuB_X1_I0+4:vgprValuB_X1_I0+4+1], v[vgprLocalReadAddrB] offset:1152 // L -> Reg lro=112 swapByteOffset=0 ti=16 vIdx=2 rIdx=0 oIdx=0 buffer=1 iui=0
v_mfma_f64_16x16x4_f64 a[32+0:39+0], v[vgprValuB_X0_I0+4+0+0:vgprValuB_X0_I0+4+0+0+1], v[vgprValuA_X0_I0+0+0+0:vgprValuA_X0_I0+0+0+0+1], a[32:39]
/*  mfmaIndex:5  */
_ds_load_b64 v[vgprValuB_X1_I0+6:vgprValuB_X1_I0+6+1], v[vgprLocalReadAddrB] offset:1280 // L -> Reg lro=112 swapByteOffset=0 ti=16 vIdx=3 rIdx=0 oIdx=0 buffer=1 iui=0
_ds_load_b64 v[vgprValuB_X1_I0+8:vgprValuB_X1_I0+8+1], v[vgprLocalReadAddrB] offset:1408 // L -> Reg lro=112 swapByteOffset=0 ti=16 vIdx=4 rIdx=0 oIdx=0 buffer=1 iui=0
	;; [unrolled: 4-line block ×3, first 2 shown]
/* localReadsVacancy: latencyLeft 1 */
v_mfma_f64_16x16x4_f64 a[56+0:63+0], v[vgprValuB_X0_I0+6+0+0:vgprValuB_X0_I0+6+0+0+1], v[vgprValuA_X0_I0+4+0+0:vgprValuA_X0_I0+4+0+0+1], a[56:63]
/*  mfmaIndex:7  */
/* localReadsVacancy: latencyLeft 5 */
_ds_load_b128 v[vgprValuA_X4_I0+0:vgprValuA_X4_I0+0+3], v[vgprLocalReadAddrA] offset:128 // L -> Reg lro=16 swapByteOffset=0 ti=128 vIdx=0 rIdx=0 oIdx=0 buffer=4 iui=0
v_mfma_f64_16x16x4_f64 a[48+0:55+0], v[vgprValuB_X0_I0+6+0+0:vgprValuB_X0_I0+6+0+0+1], v[vgprValuA_X0_I0+0+0+0:vgprValuA_X0_I0+0+0+0+1], a[48:55]
/*  mfmaIndex:8  */
/* localReadsVacancy: latencyLeft 5 */
_ds_load_b64 v[vgprValuB_X2_I0+0:vgprValuB_X2_I0+0+1], v[vgprLocalReadAddrB] offset:7168 // L -> Reg lro=896 swapByteOffset=0 ti=16 vIdx=0 rIdx=0 oIdx=0 buffer=2 iui=0
v_mfma_f64_16x16x4_f64 a[64+0:71+0], v[vgprValuB_X0_I0+8+0+0:vgprValuB_X0_I0+8+0+0+1], v[vgprValuA_X0_I0+0+0+0:vgprValuA_X0_I0+0+0+0+1], a[64:71]
/*  mfmaIndex:9  */
/* localReadsVacancy: latencyLeft 5 */
_ds_load_b128 v[vgprValuA_X4_I0+4:vgprValuA_X4_I0+4+3], v[vgprLocalReadAddrA] offset:384 // L -> Reg lro=16 swapByteOffset=0 ti=128 vIdx=0 rIdx=0 oIdx=0 buffer=4 iui=0
v_mfma_f64_16x16x4_f64 a[72+0:79+0], v[vgprValuB_X0_I0+8+0+0:vgprValuB_X0_I0+8+0+0+1], v[vgprValuA_X0_I0+4+0+0:vgprValuA_X0_I0+4+0+0+1], a[72:79]
/*  mfmaIndex:10  */
/* localReadsVacancy: latencyLeft 5 */
_ds_load_b64 v[vgprValuB_X2_I0+2:vgprValuB_X2_I0+2+1], v[vgprLocalReadAddrB] offset:7296 // L -> Reg lro=896 swapByteOffset=0 ti=16 vIdx=1 rIdx=0 oIdx=0 buffer=2 iui=0
_ds_load_b64 v[vgprValuB_X2_I0+4:vgprValuB_X2_I0+4+1], v[vgprLocalReadAddrB] offset:7424 // L -> Reg lro=896 swapByteOffset=0 ti=16 vIdx=2 rIdx=0 oIdx=0 buffer=2 iui=0
v_mfma_f64_16x16x4_f64 a[88+0:95+0], v[vgprValuB_X0_I0+10+0+0:vgprValuB_X0_I0+10+0+0+1], v[vgprValuA_X0_I0+4+0+0:vgprValuA_X0_I0+4+0+0+1], a[88:95]
/*  mfmaIndex:11  */
/* localReadsVacancy: latencyLeft 5 */
_ds_load_b64 v[vgprValuB_X2_I0+6:vgprValuB_X2_I0+6+1], v[vgprLocalReadAddrB] offset:7552 // L -> Reg lro=896 swapByteOffset=0 ti=16 vIdx=3 rIdx=0 oIdx=0 buffer=2 iui=0
_ds_load_b64 v[vgprValuB_X2_I0+8:vgprValuB_X2_I0+8+1], v[vgprLocalReadAddrB] offset:7680 // L -> Reg lro=896 swapByteOffset=0 ti=16 vIdx=4 rIdx=0 oIdx=0 buffer=2 iui=0
	;; [unrolled: 5-line block ×3, first 2 shown]
v_mfma_f64_16x16x4_f64 a[96+0:103+0], v[vgprValuB_X0_I0+12+0+0:vgprValuB_X0_I0+12+0+0+1], v[vgprValuA_X0_I0+0+0+0:vgprValuA_X0_I0+0+0+0+1], a[96:103]
/*  mfmaIndex:13  */
/* localReadsVacancy: latencyLeft 5 */
_ds_load_b128 v[vgprValuA_X6_I0+0:vgprValuA_X6_I0+0+3], v[vgprLocalReadAddrA] offset:192 // L -> Reg lro=24 swapByteOffset=0 ti=128 vIdx=0 rIdx=0 oIdx=0 buffer=6 iui=0
v_mfma_f64_16x16x4_f64 a[104+0:111+0], v[vgprValuB_X0_I0+12+0+0:vgprValuB_X0_I0+12+0+0+1], v[vgprValuA_X0_I0+4+0+0:vgprValuA_X0_I0+4+0+0+1], a[104:111]
/* numPrefetchIter=0 */
/* dataAtIterA=-1 numReadsIterA=1 skipReadsIterA=1 readsPerIterA=2 */
/* dataAtIterB=-1 numReadsIterB=1 skipReadsIterB=1 readsPerIterB=7 */


/* iter 1 (last unrolled loop) */

/*  grEndMfmaIndex:0, lwStartMfmaIndex:101, lwEndMfmaIndex:101  */
/*  numMfmaForLR:8, barrierMfmaIndex:103, LocalWritePerMfma:0.220 */
/*  mfmaIndex:14  */
/* localReadsVacancy: latencyLeft 5 */
_ds_load_b64 v[vgprValuB_X3_I0+0:vgprValuB_X3_I0+0+1], v[vgprLocalReadAddrB] offset:8064 // L -> Reg lro=1008 swapByteOffset=0 ti=16 vIdx=0 rIdx=0 oIdx=0 buffer=3 iui=0
s_waitcnt lgkmcnt(11)                              // lgkmcnt=0 vmcnt=-1wait for prior local read local write old=9, new=9 newLW=0 newLR=0
v_mfma_f64_16x16x4_f64 a[0+0:7+0], v[vgprValuB_X1_I0+0+0+0:vgprValuB_X1_I0+0+0+0+1], v[vgprValuA_X0_I0+0+2+0:vgprValuA_X0_I0+0+2+0+1], a[0:7]
/*  mfmaIndex:15  */
/* localReadsVacancy: latencyLeft 5 */
_ds_load_b128 v[vgprValuA_X6_I0+4:vgprValuA_X6_I0+4+3], v[vgprLocalReadAddrA] offset:448 // L -> Reg lro=24 swapByteOffset=0 ti=128 vIdx=0 rIdx=0 oIdx=0 buffer=6 iui=0
v_mfma_f64_16x16x4_f64 a[8+0:15+0], v[vgprValuB_X1_I0+0+0+0:vgprValuB_X1_I0+0+0+0+1], v[vgprValuA_X0_I0+4+2+0:vgprValuA_X0_I0+4+2+0+1], a[8:15]
/*  mfmaIndex:16  */
/* localReadsVacancy: latencyLeft 5 */
_ds_load_b64 v[vgprValuB_X3_I0+2:vgprValuB_X3_I0+2+1], v[vgprLocalReadAddrB] offset:8192 // L -> Reg lro=1008 swapByteOffset=0 ti=16 vIdx=1 rIdx=0 oIdx=0 buffer=3 iui=0
_ds_load_b64 v[vgprValuB_X3_I0+4:vgprValuB_X3_I0+4+1], v[vgprLocalReadAddrB] offset:8320 // L -> Reg lro=1008 swapByteOffset=0 ti=16 vIdx=2 rIdx=0 oIdx=0 buffer=3 iui=0
v_mfma_f64_16x16x4_f64 a[24+0:31+0], v[vgprValuB_X1_I0+2+0+0:vgprValuB_X1_I0+2+0+0+1], v[vgprValuA_X0_I0+4+2+0:vgprValuA_X0_I0+4+2+0+1], a[24:31]
/*  mfmaIndex:17  */
/* localReadsVacancy: latencyLeft 5 */
_ds_load_b64 v[vgprValuB_X3_I0+6:vgprValuB_X3_I0+6+1], v[vgprLocalReadAddrB] offset:8448 // L -> Reg lro=1008 swapByteOffset=0 ti=16 vIdx=3 rIdx=0 oIdx=0 buffer=3 iui=0
_ds_load_b64 v[vgprValuB_X3_I0+8:vgprValuB_X3_I0+8+1], v[vgprLocalReadAddrB] offset:8576 // L -> Reg lro=1008 swapByteOffset=0 ti=16 vIdx=4 rIdx=0 oIdx=0 buffer=3 iui=0
	;; [unrolled: 5-line block ×3, first 2 shown]
v_mfma_f64_16x16x4_f64 a[32+0:39+0], v[vgprValuB_X1_I0+4+0+0:vgprValuB_X1_I0+4+0+0+1], v[vgprValuA_X0_I0+0+2+0:vgprValuA_X0_I0+0+2+0+1], a[32:39]
/*  mfmaIndex:19  */
/* localReadsVacancy: latencyLeft 5 */
_ds_load_b64 v[vgprValuB_X4_I0+0:vgprValuB_X4_I0+0+1], v[vgprLocalReadAddrB] offset:14336 // L -> Reg lro=1792 swapByteOffset=0 ti=16 vIdx=0 rIdx=0 oIdx=0 buffer=4 iui=0
_ds_load_b64 v[vgprValuB_X4_I0+2:vgprValuB_X4_I0+2+1], v[vgprLocalReadAddrB] offset:14464 // L -> Reg lro=1792 swapByteOffset=0 ti=16 vIdx=1 rIdx=0 oIdx=0 buffer=4 iui=0
v_mfma_f64_16x16x4_f64 a[40+0:47+0], v[vgprValuB_X1_I0+4+0+0:vgprValuB_X1_I0+4+0+0+1], v[vgprValuA_X0_I0+4+2+0:vgprValuA_X0_I0+4+2+0+1], a[40:47]
/*  mfmaIndex:20  */
/* localReadsVacancy: latencyLeft 5 */
_ds_load_b64 v[vgprValuB_X4_I0+4:vgprValuB_X4_I0+4+1], v[vgprLocalReadAddrB] offset:14592 // L -> Reg lro=1792 swapByteOffset=0 ti=16 vIdx=2 rIdx=0 oIdx=0 buffer=4 iui=0
_ds_load_b64 v[vgprValuB_X4_I0+6:vgprValuB_X4_I0+6+1], v[vgprLocalReadAddrB] offset:14720 // L -> Reg lro=1792 swapByteOffset=0 ti=16 vIdx=3 rIdx=0 oIdx=0 buffer=4 iui=0
	;; [unrolled: 5-line block ×3, first 2 shown]
v_mfma_f64_16x16x4_f64 a[48+0:55+0], v[vgprValuB_X1_I0+6+0+0:vgprValuB_X1_I0+6+0+0+1], v[vgprValuA_X0_I0+0+2+0:vgprValuA_X0_I0+0+2+0+1], a[48:55]
/*  mfmaIndex:22  */
/* localReadsVacancy: latencyLeft 5 */
_ds_load_b64 v[vgprValuB_X4_I0+12:vgprValuB_X4_I0+12+1], v[vgprLocalReadAddrB] offset:15104 // L -> Reg lro=1792 swapByteOffset=0 ti=16 vIdx=6 rIdx=0 oIdx=0 buffer=4 iui=0
_ds_load_b64 v[vgprValuB_X5_I0+0:vgprValuB_X5_I0+0+1], v[vgprLocalReadAddrB] offset:15232 // L -> Reg lro=1904 swapByteOffset=0 ti=16 vIdx=0 rIdx=0 oIdx=0 buffer=5 iui=0
v_mfma_f64_16x16x4_f64 a[64+0:71+0], v[vgprValuB_X1_I0+8+0+0:vgprValuB_X1_I0+8+0+0+1], v[vgprValuA_X0_I0+0+2+0:vgprValuA_X0_I0+0+2+0+1], a[64:71]
/*  mfmaIndex:23  */
/* localReadsVacancy: latencyLeft 5 */
_ds_load_b64 v[vgprValuB_X5_I0+2:vgprValuB_X5_I0+2+1], v[vgprLocalReadAddrB] offset:15360 // L -> Reg lro=1904 swapByteOffset=0 ti=16 vIdx=1 rIdx=0 oIdx=0 buffer=5 iui=0
_ds_load_b64 v[vgprValuB_X5_I0+4:vgprValuB_X5_I0+4+1], v[vgprLocalReadAddrB] offset:15488 // L -> Reg lro=1904 swapByteOffset=0 ti=16 vIdx=2 rIdx=0 oIdx=0 buffer=5 iui=0
v_mfma_f64_16x16x4_f64 a[72+0:79+0], v[vgprValuB_X1_I0+8+0+0:vgprValuB_X1_I0+8+0+0+1], v[vgprValuA_X0_I0+4+2+0:vgprValuA_X0_I0+4+2+0+1], a[72:79]
/*  mfmaIndex:24  */
/* localReadsVacancy: latencyLeft 5 */
_ds_load_b64 v[vgprValuB_X5_I0+6:vgprValuB_X5_I0+6+1], v[vgprLocalReadAddrB] offset:15616 // L -> Reg lro=1904 swapByteOffset=0 ti=16 vIdx=3 rIdx=0 oIdx=0 buffer=5 iui=0
	;; [unrolled: 5-line block ×3, first 2 shown]
_ds_load_b64 v[vgprValuB_X5_I0+12:vgprValuB_X5_I0+12+1], v[vgprLocalReadAddrB] offset:16000 // L -> Reg lro=1904 swapByteOffset=0 ti=16 vIdx=6 rIdx=0 oIdx=0 buffer=5 iui=0
v_mfma_f64_16x16x4_f64 a[80+0:87+0], v[vgprValuB_X1_I0+10+0+0:vgprValuB_X1_I0+10+0+0+1], v[vgprValuA_X0_I0+0+2+0:vgprValuA_X0_I0+0+2+0+1], a[80:87]
/*  mfmaIndex:26  */
/* localReadsVacancy: latencyLeft 5 */
_ds_load_b64 v[vgprValuB_X6_I0+0:vgprValuB_X6_I0+0+1], v[vgprLocalReadAddrB] offset:21504 // L -> Reg lro=2688 swapByteOffset=0 ti=16 vIdx=0 rIdx=0 oIdx=0 buffer=6 iui=0
_ds_load_b64 v[vgprValuB_X6_I0+2:vgprValuB_X6_I0+2+1], v[vgprLocalReadAddrB] offset:21632 // L -> Reg lro=2688 swapByteOffset=0 ti=16 vIdx=1 rIdx=0 oIdx=0 buffer=6 iui=0
v_mfma_f64_16x16x4_f64 a[96+0:103+0], v[vgprValuB_X1_I0+12+0+0:vgprValuB_X1_I0+12+0+0+1], v[vgprValuA_X0_I0+0+2+0:vgprValuA_X0_I0+0+2+0+1], a[96:103]
/*  mfmaIndex:27  */
/* localReadsVacancy: latencyLeft 5 */
_ds_load_b64 v[vgprValuB_X6_I0+4:vgprValuB_X6_I0+4+1], v[vgprLocalReadAddrB] offset:21760 // L -> Reg lro=2688 swapByteOffset=0 ti=16 vIdx=2 rIdx=0 oIdx=0 buffer=6 iui=0
_ds_load_b64 v[vgprValuB_X6_I0+6:vgprValuB_X6_I0+6+1], v[vgprLocalReadAddrB] offset:21888 // L -> Reg lro=2688 swapByteOffset=0 ti=16 vIdx=3 rIdx=0 oIdx=0 buffer=6 iui=0
v_mfma_f64_16x16x4_f64 a[104+0:111+0], v[vgprValuB_X1_I0+12+0+0:vgprValuB_X1_I0+12+0+0+1], v[vgprValuA_X0_I0+4+2+0:vgprValuA_X0_I0+4+2+0+1], a[104:111]
/* numPrefetchIter=0 */
/* dataAtIterA=-1 numReadsIterA=2 skipReadsIterA=0 readsPerIterA=2 */
/* dataAtIterB=0 numReadsIterB=2 skipReadsIterB=1 readsPerIterB=7 */


/* iter 2 (last unrolled loop) */

/*  grEndMfmaIndex:0, lwStartMfmaIndex:101, lwEndMfmaIndex:101  */
/*  numMfmaForLR:8, barrierMfmaIndex:103, LocalWritePerMfma:0.220 */
/*  mfmaIndex:28  */
/* localReadsVacancy: latencyLeft 5 */
_ds_load_b64 v[vgprValuB_X6_I0+8:vgprValuB_X6_I0+8+1], v[vgprLocalReadAddrB] offset:22016 // L -> Reg lro=2688 swapByteOffset=0 ti=16 vIdx=4 rIdx=0 oIdx=0 buffer=6 iui=0
_ds_load_b64 v[vgprValuB_X6_I0+10:vgprValuB_X6_I0+10+1], v[vgprLocalReadAddrB] offset:22144 // L -> Reg lro=2688 swapByteOffset=0 ti=16 vIdx=5 rIdx=0 oIdx=0 buffer=6 iui=0
s_waitcnt lgkmcnt(15)                              // lgkmcnt=0 vmcnt=-1wait for prior local read local write old=8, new=8 newLW=0 newLR=0
v_mfma_f64_16x16x4_f64 a[0+0:7+0], v[vgprValuB_X2_I0+0+0+0:vgprValuB_X2_I0+0+0+0+1], v[vgprValuA_X2_I0+0+0+0:vgprValuA_X2_I0+0+0+0+1], a[0:7]
/*  mfmaIndex:29  */
/* localReadsVacancy: latencyLeft 5 */
_ds_load_b64 v[vgprValuB_X6_I0+12:vgprValuB_X6_I0+12+1], v[vgprLocalReadAddrB] offset:22272 // L -> Reg lro=2688 swapByteOffset=0 ti=16 vIdx=6 rIdx=0 oIdx=0 buffer=6 iui=0
_ds_load_b64 v[vgprValuB_X7_I0+0:vgprValuB_X7_I0+0+1], v[vgprLocalReadAddrB] offset:22400 // L -> Reg lro=2800 swapByteOffset=0 ti=16 vIdx=0 rIdx=0 oIdx=0 buffer=7 iui=0
v_mfma_f64_16x16x4_f64 a[8+0:15+0], v[vgprValuB_X2_I0+0+0+0:vgprValuB_X2_I0+0+0+0+1], v[vgprValuA_X2_I0+4+0+0:vgprValuA_X2_I0+4+0+0+1], a[8:15]
/*  mfmaIndex:30  */
/* localReadsVacancy: latencyLeft 5 */
_ds_load_b64 v[vgprValuB_X7_I0+2:vgprValuB_X7_I0+2+1], v[vgprLocalReadAddrB] offset:22528 // L -> Reg lro=2800 swapByteOffset=0 ti=16 vIdx=1 rIdx=0 oIdx=0 buffer=7 iui=0
_ds_load_b64 v[vgprValuB_X7_I0+4:vgprValuB_X7_I0+4+1], v[vgprLocalReadAddrB] offset:22656 // L -> Reg lro=2800 swapByteOffset=0 ti=16 vIdx=2 rIdx=0 oIdx=0 buffer=7 iui=0
v_mfma_f64_16x16x4_f64 a[24+0:31+0], v[vgprValuB_X2_I0+2+0+0:vgprValuB_X2_I0+2+0+0+1], v[vgprValuA_X2_I0+4+0+0:vgprValuA_X2_I0+4+0+0+1], a[24:31]
/*  mfmaIndex:31  */
/* localReadsVacancy: latencyLeft 5 */
_ds_load_b64 v[vgprValuB_X7_I0+6:vgprValuB_X7_I0+6+1], v[vgprLocalReadAddrB] offset:22784 // L -> Reg lro=2800 swapByteOffset=0 ti=16 vIdx=3 rIdx=0 oIdx=0 buffer=7 iui=0
	;; [unrolled: 5-line block ×3, first 2 shown]
_ds_load_b64 v[vgprValuB_X7_I0+12:vgprValuB_X7_I0+12+1], v[vgprLocalReadAddrB] offset:23168 // L -> Reg lro=2800 swapByteOffset=0 ti=16 vIdx=6 rIdx=0 oIdx=0 buffer=7 iui=0
v_mfma_f64_16x16x4_f64 a[32+0:39+0], v[vgprValuB_X2_I0+4+0+0:vgprValuB_X2_I0+4+0+0+1], v[vgprValuA_X2_I0+0+0+0:vgprValuA_X2_I0+0+0+0+1], a[32:39]
/*  mfmaIndex:33  */
/* localReadsVacancy: latencyLeft 5 */
v_mfma_f64_16x16x4_f64 a[40+0:47+0], v[vgprValuB_X2_I0+4+0+0:vgprValuB_X2_I0+4+0+0+1], v[vgprValuA_X2_I0+4+0+0:vgprValuA_X2_I0+4+0+0+1], a[40:47]
/*  mfmaIndex:34  */
/* localReadsVacancy: latencyLeft 5 */
v_mfma_f64_16x16x4_f64 a[56+0:63+0], v[vgprValuB_X2_I0+6+0+0:vgprValuB_X2_I0+6+0+0+1], v[vgprValuA_X2_I0+4+0+0:vgprValuA_X2_I0+4+0+0+1], a[56:63]
/*  mfmaIndex:35  */
/* localReadsVacancy: latencyLeft 5 */
v_mfma_f64_16x16x4_f64 a[48+0:55+0], v[vgprValuB_X2_I0+6+0+0:vgprValuB_X2_I0+6+0+0+1], v[vgprValuA_X2_I0+0+0+0:vgprValuA_X2_I0+0+0+0+1], a[48:55]
/*  mfmaIndex:36  */
/* localReadsVacancy: latencyLeft 5 */
v_mfma_f64_16x16x4_f64 a[64+0:71+0], v[vgprValuB_X2_I0+8+0+0:vgprValuB_X2_I0+8+0+0+1], v[vgprValuA_X2_I0+0+0+0:vgprValuA_X2_I0+0+0+0+1], a[64:71]
/*  mfmaIndex:37  */
/* localReadsVacancy: latencyLeft 5 */
v_mfma_f64_16x16x4_f64 a[72+0:79+0], v[vgprValuB_X2_I0+8+0+0:vgprValuB_X2_I0+8+0+0+1], v[vgprValuA_X2_I0+4+0+0:vgprValuA_X2_I0+4+0+0+1], a[72:79]
/*  mfmaIndex:38  */
/* localReadsVacancy: latencyLeft 5 */
v_mfma_f64_16x16x4_f64 a[88+0:95+0], v[vgprValuB_X2_I0+10+0+0:vgprValuB_X2_I0+10+0+0+1], v[vgprValuA_X2_I0+4+0+0:vgprValuA_X2_I0+4+0+0+1], a[88:95]
/*  mfmaIndex:39  */
/* localReadsVacancy: latencyLeft 5 */
v_mfma_f64_16x16x4_f64 a[80+0:87+0], v[vgprValuB_X2_I0+10+0+0:vgprValuB_X2_I0+10+0+0+1], v[vgprValuA_X2_I0+0+0+0:vgprValuA_X2_I0+0+0+0+1], a[80:87]
/*  mfmaIndex:40  */
/* localReadsVacancy: latencyLeft 5 */
v_mfma_f64_16x16x4_f64 a[96+0:103+0], v[vgprValuB_X2_I0+12+0+0:vgprValuB_X2_I0+12+0+0+1], v[vgprValuA_X2_I0+0+0+0:vgprValuA_X2_I0+0+0+0+1], a[96:103]
/*  mfmaIndex:41  */
/* localReadsVacancy: latencyLeft 5 */
v_mfma_f64_16x16x4_f64 a[104+0:111+0], v[vgprValuB_X2_I0+12+0+0:vgprValuB_X2_I0+12+0+0+1], v[vgprValuA_X2_I0+4+0+0:vgprValuA_X2_I0+4+0+0+1], a[104:111]
/* numPrefetchIter=0 */
/* dataAtIterA=0 numReadsIterA=3 skipReadsIterA=0 readsPerIterA=2 */
/* dataAtIterB=1 numReadsIterB=3 skipReadsIterB=1 readsPerIterB=7 */


/* iter 3 (last unrolled loop) */

/*  grEndMfmaIndex:0, lwStartMfmaIndex:101, lwEndMfmaIndex:101  */
/*  numMfmaForLR:8, barrierMfmaIndex:103, LocalWritePerMfma:0.220 */
/*  mfmaIndex:42  */
/* localReadsVacancy: latencyLeft 5 */
s_waitcnt lgkmcnt(15)                              // lgkmcnt=0 vmcnt=-1wait for prior local read local write old=7, new=7 newLW=0 newLR=0
v_mfma_f64_16x16x4_f64 a[0+0:7+0], v[vgprValuB_X3_I0+0+0+0:vgprValuB_X3_I0+0+0+0+1], v[vgprValuA_X2_I0+0+2+0:vgprValuA_X2_I0+0+2+0+1], a[0:7]
/*  mfmaIndex:43  */
/* localReadsVacancy: latencyLeft 5 */
v_mfma_f64_16x16x4_f64 a[8+0:15+0], v[vgprValuB_X3_I0+0+0+0:vgprValuB_X3_I0+0+0+0+1], v[vgprValuA_X2_I0+4+2+0:vgprValuA_X2_I0+4+2+0+1], a[8:15]
/*  mfmaIndex:44  */
/* localReadsVacancy: latencyLeft 5 */
	;; [unrolled: 3-line block ×13, first 2 shown]
v_mfma_f64_16x16x4_f64 a[104+0:111+0], v[vgprValuB_X3_I0+12+0+0:vgprValuB_X3_I0+12+0+0+1], v[vgprValuA_X2_I0+4+2+0:vgprValuA_X2_I0+4+2+0+1], a[104:111]
/* numPrefetchIter=0 */
/* dataAtIterA=0 numReadsIterA=3 skipReadsIterA=0 readsPerIterA=2 */
/* dataAtIterB=2 numReadsIterB=4 skipReadsIterB=1 readsPerIterB=7 */


/* iter 4 (last unrolled loop) */

/*  grEndMfmaIndex:0, lwStartMfmaIndex:101, lwEndMfmaIndex:101  */
/*  numMfmaForLR:8, barrierMfmaIndex:103, LocalWritePerMfma:0.220 */
/*  mfmaIndex:56  */
/* localReadsVacancy: latencyLeft 5 */
s_waitcnt lgkmcnt(15)                              // lgkmcnt=0 vmcnt=-1wait for prior local read local write old=7, new=7 newLW=0 newLR=0
v_mfma_f64_16x16x4_f64 a[0+0:7+0], v[vgprValuB_X4_I0+0+0+0:vgprValuB_X4_I0+0+0+0+1], v[vgprValuA_X4_I0+0+0+0:vgprValuA_X4_I0+0+0+0+1], a[0:7]
/*  mfmaIndex:57  */
/* localReadsVacancy: latencyLeft 5 */
v_mfma_f64_16x16x4_f64 a[8+0:15+0], v[vgprValuB_X4_I0+0+0+0:vgprValuB_X4_I0+0+0+0+1], v[vgprValuA_X4_I0+4+0+0:vgprValuA_X4_I0+4+0+0+1], a[8:15]
/*  mfmaIndex:58  */
/* localReadsVacancy: latencyLeft 5 */
	;; [unrolled: 3-line block ×13, first 2 shown]
v_mfma_f64_16x16x4_f64 a[104+0:111+0], v[vgprValuB_X4_I0+12+0+0:vgprValuB_X4_I0+12+0+0+1], v[vgprValuA_X4_I0+4+0+0:vgprValuA_X4_I0+4+0+0+1], a[104:111]
/* numPrefetchIter=0 */
/* dataAtIterA=1 numReadsIterA=3 skipReadsIterA=0 readsPerIterA=2 */
/* dataAtIterB=3 numReadsIterB=5 skipReadsIterB=1 readsPerIterB=7 */


/* iter 5 (last unrolled loop) */

/*  grEndMfmaIndex:0, lwStartMfmaIndex:101, lwEndMfmaIndex:101  */
/*  numMfmaForLR:8, barrierMfmaIndex:103, LocalWritePerMfma:0.220 */
/*  mfmaIndex:70  */
/* localReadsVacancy: latencyLeft 5 */
s_waitcnt lgkmcnt(14)                              // lgkmcnt=0 vmcnt=-1wait for prior local read local write old=7, new=7 newLW=0 newLR=0
v_mfma_f64_16x16x4_f64 a[0+0:7+0], v[vgprValuB_X5_I0+0+0+0:vgprValuB_X5_I0+0+0+0+1], v[vgprValuA_X4_I0+0+2+0:vgprValuA_X4_I0+0+2+0+1], a[0:7]
/*  mfmaIndex:71  */
/* localReadsVacancy: latencyLeft 5 */
v_mfma_f64_16x16x4_f64 a[8+0:15+0], v[vgprValuB_X5_I0+0+0+0:vgprValuB_X5_I0+0+0+0+1], v[vgprValuA_X4_I0+4+2+0:vgprValuA_X4_I0+4+2+0+1], a[8:15]
/*  mfmaIndex:72  */
/* localReadsVacancy: latencyLeft 5 */
	;; [unrolled: 3-line block ×13, first 2 shown]
v_mfma_f64_16x16x4_f64 a[104+0:111+0], v[vgprValuB_X5_I0+12+0+0:vgprValuB_X5_I0+12+0+0+1], v[vgprValuA_X4_I0+4+2+0:vgprValuA_X4_I0+4+2+0+1], a[104:111]
/* numPrefetchIter=0 */
/* dataAtIterA=1 numReadsIterA=3 skipReadsIterA=0 readsPerIterA=2 */
/* dataAtIterB=4 numReadsIterB=6 skipReadsIterB=1 readsPerIterB=7 */


/* iter 6 (last unrolled loop) */

/*  grEndMfmaIndex:0, lwStartMfmaIndex:101, lwEndMfmaIndex:101  */
/*  numMfmaForLR:8, barrierMfmaIndex:103, LocalWritePerMfma:0.220 */
/*  mfmaIndex:84  */
/* localReadsVacancy: latencyLeft 5 */
s_waitcnt lgkmcnt(7)                               // lgkmcnt=0 vmcnt=-1wait for prior local read local write old=7, new=7 newLW=0 newLR=0
v_mfma_f64_16x16x4_f64 a[0+0:7+0], v[vgprValuB_X6_I0+0+0+0:vgprValuB_X6_I0+0+0+0+1], v[vgprValuA_X6_I0+0+0+0:vgprValuA_X6_I0+0+0+0+1], a[0:7]
/*  mfmaIndex:85  */
/* localReadsVacancy: latencyLeft 5 */
v_mfma_f64_16x16x4_f64 a[8+0:15+0], v[vgprValuB_X6_I0+0+0+0:vgprValuB_X6_I0+0+0+0+1], v[vgprValuA_X6_I0+4+0+0:vgprValuA_X6_I0+4+0+0+1], a[8:15]
/*  mfmaIndex:86  */
/* localReadsVacancy: latencyLeft 5 */
	;; [unrolled: 3-line block ×13, first 2 shown]
v_mfma_f64_16x16x4_f64 a[104+0:111+0], v[vgprValuB_X6_I0+12+0+0:vgprValuB_X6_I0+12+0+0+1], v[vgprValuA_X6_I0+4+0+0:vgprValuA_X6_I0+4+0+0+1], a[104:111]
/* numPrefetchIter=0 */
/* dataAtIterA=2 numReadsIterA=3 skipReadsIterA=0 readsPerIterA=2 */
/* dataAtIterB=5 numReadsIterB=7 skipReadsIterB=1 readsPerIterB=7 */


/* iter 7 (last unrolled loop) */

/*  grEndMfmaIndex:0, lwStartMfmaIndex:101, lwEndMfmaIndex:101  */
/*  numMfmaForLR:8, barrierMfmaIndex:103, LocalWritePerMfma:0.220 */
/*  mfmaIndex:98  */
s_waitcnt lgkmcnt(0)                               // lgkmcnt=0 vmcnt=-1wait for prior local read local write old=0, new=0 newLW=0 newLR=0
v_mfma_f64_16x16x4_f64 a[0+0:7+0], v[vgprValuB_X7_I0+0+0+0:vgprValuB_X7_I0+0+0+0+1], v[vgprValuA_X6_I0+0+2+0:vgprValuA_X6_I0+0+2+0+1], a[0:7]
/*  mfmaIndex:99  */
v_mfma_f64_16x16x4_f64 a[8+0:15+0], v[vgprValuB_X7_I0+0+0+0:vgprValuB_X7_I0+0+0+0+1], v[vgprValuA_X6_I0+4+2+0:vgprValuA_X6_I0+4+2+0+1], a[8:15]
/*  mfmaIndex:100  */
/* 1 LDS buffer: read-sync-write */
s_waitcnt lgkmcnt(0)                               // 
s_barrier                                          // 
v_mfma_f64_16x16x4_f64 a[24+0:31+0], v[vgprValuB_X7_I0+2+0+0:vgprValuB_X7_I0+2+0+0+1], v[vgprValuA_X6_I0+4+2+0:vgprValuA_X6_I0+4+2+0+1], a[24:31]
/*  mfmaIndex:101  */
v_mfma_f64_16x16x4_f64 a[16+0:23+0], v[vgprValuB_X7_I0+2+0+0:vgprValuB_X7_I0+2+0+0+1], v[vgprValuA_X6_I0+0+2+0:vgprValuA_X6_I0+0+2+0+1], a[16:23]
/*  mfmaIndex:102  */
v_mfma_f64_16x16x4_f64 a[32+0:39+0], v[vgprValuB_X7_I0+4+0+0:vgprValuB_X7_I0+4+0+0+1], v[vgprValuA_X6_I0+0+2+0:vgprValuA_X6_I0+0+2+0+1], a[32:39]
/*  mfmaIndex:103  */
v_mfma_f64_16x16x4_f64 a[40+0:47+0], v[vgprValuB_X7_I0+4+0+0:vgprValuB_X7_I0+4+0+0+1], v[vgprValuA_X6_I0+4+2+0:vgprValuA_X6_I0+4+2+0+1], a[40:47]
/*  mfmaIndex:104  */
v_mfma_f64_16x16x4_f64 a[56+0:63+0], v[vgprValuB_X7_I0+6+0+0:vgprValuB_X7_I0+6+0+0+1], v[vgprValuA_X6_I0+4+2+0:vgprValuA_X6_I0+4+2+0+1], a[56:63]
/*  mfmaIndex:105  */
v_mfma_f64_16x16x4_f64 a[48+0:55+0], v[vgprValuB_X7_I0+6+0+0:vgprValuB_X7_I0+6+0+0+1], v[vgprValuA_X6_I0+0+2+0:vgprValuA_X6_I0+0+2+0+1], a[48:55]
/*  mfmaIndex:106  */
v_mfma_f64_16x16x4_f64 a[64+0:71+0], v[vgprValuB_X7_I0+8+0+0:vgprValuB_X7_I0+8+0+0+1], v[vgprValuA_X6_I0+0+2+0:vgprValuA_X6_I0+0+2+0+1], a[64:71]
/*  mfmaIndex:107  */
v_mfma_f64_16x16x4_f64 a[72+0:79+0], v[vgprValuB_X7_I0+8+0+0:vgprValuB_X7_I0+8+0+0+1], v[vgprValuA_X6_I0+4+2+0:vgprValuA_X6_I0+4+2+0+1], a[72:79]
/*  mfmaIndex:108  */
v_mfma_f64_16x16x4_f64 a[88+0:95+0], v[vgprValuB_X7_I0+10+0+0:vgprValuB_X7_I0+10+0+0+1], v[vgprValuA_X6_I0+4+2+0:vgprValuA_X6_I0+4+2+0+1], a[88:95]
/*  mfmaIndex:109  */
v_mfma_f64_16x16x4_f64 a[80+0:87+0], v[vgprValuB_X7_I0+10+0+0:vgprValuB_X7_I0+10+0+0+1], v[vgprValuA_X6_I0+0+2+0:vgprValuA_X6_I0+0+2+0+1], a[80:87]
/*  mfmaIndex:110  */
v_mfma_f64_16x16x4_f64 a[96+0:103+0], v[vgprValuB_X7_I0+12+0+0:vgprValuB_X7_I0+12+0+0+1], v[vgprValuA_X6_I0+0+2+0:vgprValuA_X6_I0+0+2+0+1], a[96:103]
/*  mfmaIndex:111  */
v_mfma_f64_16x16x4_f64 a[104+0:111+0], v[vgprValuB_X7_I0+12+0+0:vgprValuB_X7_I0+12+0+0+1], v[vgprValuA_X6_I0+4+2+0:vgprValuA_X6_I0+4+2+0+1], a[104:111]
/* numPrefetchIter=0 */
/* dataAtIterA=2 numReadsIterA=3 skipReadsIterA=0 readsPerIterA=2 */
/* dataAtIterB=6 numReadsIterB=7 skipReadsIterB=0 readsPerIterB=7 */

/* Stores for OptNLL */
Summation_End_OptNLL_18:
/* endSummation: add vgpr [0...208) to pool */
.set ScalarGlobalReadOffsetA, UNDEF
.set ScalarGlobalReadOffsetB, UNDEF

/* Mapping of Acc register -> C Vgpr register */
/* computeStoreVgprs */
v_lshrrev_b32 v4, 6, v[vgprSerial]                 // v4 = v[vgprSerial] / 64
v_and_b32 v1, 63, v[vgprSerial]                    // v1 = v[vgprSerial] % 64
v_lshrrev_b32 v1, 4, v1                            // v1 = v1 / 16
                                                   // thread0 * continuous_output (multiplier is 1, do nothing)
v_lshrrev_b32 v5, 2, v4                            // v5 = v4 / 4
v_mul_lo_u32 v5, 0x10, v5                          // wave coordination offset 1
_v_add_lshl_u32 v1, v5, v1, 0                      // coordination 1 = vwb *(wave_id1 + tid1)
v_mul_lo_u32 v2, v1, s[sgprStrideC1J]              //  offset 1
v_mul_lo_u32 v3, v1, s[sgprStrideD1J]              //  offset 1
v_and_b32 v5, 3, v4                                // v5 = v4 % 4
v_mul_lo_u32 v5, 0x10, v5                          // wave coordination offset 0
v_and_b32 v0, 15, v[vgprSerial]                    // v0 = v[vgprSerial] % 16
_v_add_lshl_u32 v0, v5, v0, 1                      // coordination 0 = vwa *(wave_id0 + tid0)
s_mul_i32 s31, 128, s[sgprWorkGroup0]              // wgp0 * MT0
_v_add_u32 v0, s31, v0                             // coord 0 = (tid0/MI_m)*4 + waveG0*MIB_m + MT0*SG0
s_mul_i32 s31, 112, s[sgprWorkGroup1]              // wgp1 * MT1
_v_add_u32 v1, s31, v1                             // coord 1 = (tid0%MI_m) + waveG1*MIB_n + MT1*SG1
GW_B0_E0_21:

/* edge=0, allocate 2 sgpr. perBatchTmpS=2 perBatchMaskS=0 perElementMaskS=0 elementsPerBatch=4 */
/* optSingleColVgpr=1 optSharedColVgpr=0 optSGPRUsage=BufferLoad_Mask optSrdIncForRow=1 */

/******************************************/
/* Global Write Batch #0 (d1,d0,vc1,vc0) = */
/*    (0,0,0,0:vw2); (1,0,0,0:vw2); (2,0,0,0:vw2); (3,0,0,0:vw2) */
/******************************************/

/* calc coords, apply mask, and issue loads (if necessary) */
/* (d1,vc1,d0,vc0)=(0,0,0,0) */
/* (d1,vc1,d0,vc0)=(1,0,0,0) */
	;; [unrolled: 1-line block ×4, first 2 shown]
_v_add_lshl_u32 v6, v3, v0, 0x3                    // optSingleColVgpr scaleToBpe: sharedAddrVgpr <- cinRowPtr + coord0, scaled by BPE. BSHERE:coord0=0, coord0Vgpr=0
v_accvgpr_read_b32 v[vgprValuC+8], acc0 // copy acc to vreg[0]
v_accvgpr_read_b32 v[vgprValuC+9], acc1 // copy acc to vreg[1]
v_accvgpr_read_b32 v[vgprValuC+10], acc8 // copy acc to vreg[2]
v_accvgpr_read_b32 v[vgprValuC+11], acc9 // copy acc to vreg[3]
v_accvgpr_read_b32 v[vgprValuC+12], acc2 // copy acc to vreg[4]
v_accvgpr_read_b32 v[vgprValuC+13], acc3 // copy acc to vreg[5]
v_accvgpr_read_b32 v[vgprValuC+14], acc10 // copy acc to vreg[6]
v_accvgpr_read_b32 v[vgprValuC+15], acc11 // copy acc to vreg[7]
v_accvgpr_read_b32 v[vgprValuC+16], acc4 // copy acc to vreg[8]
v_accvgpr_read_b32 v[vgprValuC+17], acc5 // copy acc to vreg[9]
v_accvgpr_read_b32 v[vgprValuC+18], acc12 // copy acc to vreg[10]
v_accvgpr_read_b32 v[vgprValuC+19], acc13 // copy acc to vreg[11]
v_accvgpr_read_b32 v[vgprValuC+20], acc6 // copy acc to vreg[12]
v_accvgpr_read_b32 v[vgprValuC+21], acc7 // copy acc to vreg[13]
v_accvgpr_read_b32 v[vgprValuC+22], acc14 // copy acc to vreg[14]
v_accvgpr_read_b32 v[vgprValuC+23], acc15 // copy acc to vreg[15]
s_nop 1                                            // 2 wait states required before reading vgpr

/* apply mask, calc new C and issue writes */
_buffer_store_b128 v[8:11], v6, s[sgprSrdD:sgprSrdD+3], 0, offen, offset:0,  sc0 sc1 // store D
s_mul_i32 s32, s[sgprStrideD1J], 32                // scale StrideD *= numRows(4) * bpe
s_add_u32  s[sgprSrdD+0], s[sgprSrdD+0], s32       // incToNextRow: gra SRD += inc(lower)
s_addc_u32  s[sgprSrdD+1], s[sgprSrdD+1], 0        // incToNextRow: gra SRD += inc(upper)
_buffer_store_b128 v[12:15], v6, s[sgprSrdD:sgprSrdD+3], 0, offen, offset:0,  sc0 sc1 // store D
s_mul_i32 s32, s[sgprStrideD1J], 32                // scale StrideD *= numRows(4) * bpe
s_add_u32  s[sgprSrdD+0], s[sgprSrdD+0], s32       // incToNextRow: gra SRD += inc(lower)
s_addc_u32  s[sgprSrdD+1], s[sgprSrdD+1], 0        // incToNextRow: gra SRD += inc(upper)
	;; [unrolled: 4-line block ×3, first 2 shown]
_buffer_store_b128 v[20:23], v6, s[sgprSrdD:sgprSrdD+3], 0, offen, offset:0,  sc0 sc1 // store D
s_nop 0                                            // 1 wait state required when next inst writes vgprs held by previous dwordx4 store inst
/* optSingleColVgpr=1 optSharedColVgpr=0 optSGPRUsage=BufferLoad_Mask optSrdIncForRow=1 */

/******************************************/
/* Global Write Batch #1 (d1,d0,vc1,vc0) = */
/*    (4,0,0,0:vw2); (5,0,0,0:vw2); (6,0,0,0:vw2); (7,0,0,0:vw2) */
/******************************************/

/* calc coords, apply mask, and issue loads (if necessary) */
/* (d1,vc1,d0,vc0)=(4,0,0,0) */
/* (d1,vc1,d0,vc0)=(5,0,0,0) */
	;; [unrolled: 1-line block ×4, first 2 shown]
v_accvgpr_read_b32 v[vgprValuC+8], acc16 // copy acc to vreg[16]
v_accvgpr_read_b32 v[vgprValuC+9], acc17 // copy acc to vreg[17]
v_accvgpr_read_b32 v[vgprValuC+10], acc24 // copy acc to vreg[18]
v_accvgpr_read_b32 v[vgprValuC+11], acc25 // copy acc to vreg[19]
v_accvgpr_read_b32 v[vgprValuC+12], acc18 // copy acc to vreg[20]
v_accvgpr_read_b32 v[vgprValuC+13], acc19 // copy acc to vreg[21]
v_accvgpr_read_b32 v[vgprValuC+14], acc26 // copy acc to vreg[22]
v_accvgpr_read_b32 v[vgprValuC+15], acc27 // copy acc to vreg[23]
v_accvgpr_read_b32 v[vgprValuC+16], acc20 // copy acc to vreg[24]
v_accvgpr_read_b32 v[vgprValuC+17], acc21 // copy acc to vreg[25]
v_accvgpr_read_b32 v[vgprValuC+18], acc28 // copy acc to vreg[26]
v_accvgpr_read_b32 v[vgprValuC+19], acc29 // copy acc to vreg[27]
v_accvgpr_read_b32 v[vgprValuC+20], acc22 // copy acc to vreg[28]
v_accvgpr_read_b32 v[vgprValuC+21], acc23 // copy acc to vreg[29]
v_accvgpr_read_b32 v[vgprValuC+22], acc30 // copy acc to vreg[30]
v_accvgpr_read_b32 v[vgprValuC+23], acc31 // copy acc to vreg[31]
s_nop 1                                            // 2 wait states required before reading vgpr

/* apply mask, calc new C and issue writes */
s_mul_i32 s32, s[sgprStrideD1J], 32                // scale StrideD *= numRows(4) * bpe
s_add_u32  s[sgprSrdD+0], s[sgprSrdD+0], s32       // incToNextRow: gra SRD += inc(lower)
s_addc_u32  s[sgprSrdD+1], s[sgprSrdD+1], 0        // incToNextRow: gra SRD += inc(upper)
_buffer_store_b128 v[8:11], v6, s[sgprSrdD:sgprSrdD+3], 0, offen, offset:0,  sc0 sc1 // store D
s_mul_i32 s32, s[sgprStrideD1J], 32                // scale StrideD *= numRows(4) * bpe
s_add_u32  s[sgprSrdD+0], s[sgprSrdD+0], s32       // incToNextRow: gra SRD += inc(lower)
s_addc_u32  s[sgprSrdD+1], s[sgprSrdD+1], 0        // incToNextRow: gra SRD += inc(upper)
_buffer_store_b128 v[12:15], v6, s[sgprSrdD:sgprSrdD+3], 0, offen, offset:0,  sc0 sc1 // store D
	;; [unrolled: 4-line block ×4, first 2 shown]
s_nop 0                                            // 1 wait state required when next inst writes vgprs held by previous dwordx4 store inst
/* optSingleColVgpr=1 optSharedColVgpr=0 optSGPRUsage=BufferLoad_Mask optSrdIncForRow=1 */

/******************************************/
/* Global Write Batch #2 (d1,d0,vc1,vc0) = */
/*    (8,0,0,0:vw2); (9,0,0,0:vw2); (10,0,0,0:vw2); (11,0,0,0:vw2) */
/******************************************/

/* calc coords, apply mask, and issue loads (if necessary) */
/* (d1,vc1,d0,vc0)=(8,0,0,0) */
/* (d1,vc1,d0,vc0)=(9,0,0,0) */
	;; [unrolled: 1-line block ×4, first 2 shown]
v_accvgpr_read_b32 v[vgprValuC+8], acc32 // copy acc to vreg[32]
v_accvgpr_read_b32 v[vgprValuC+9], acc33 // copy acc to vreg[33]
v_accvgpr_read_b32 v[vgprValuC+10], acc40 // copy acc to vreg[34]
v_accvgpr_read_b32 v[vgprValuC+11], acc41 // copy acc to vreg[35]
v_accvgpr_read_b32 v[vgprValuC+12], acc34 // copy acc to vreg[36]
v_accvgpr_read_b32 v[vgprValuC+13], acc35 // copy acc to vreg[37]
v_accvgpr_read_b32 v[vgprValuC+14], acc42 // copy acc to vreg[38]
v_accvgpr_read_b32 v[vgprValuC+15], acc43 // copy acc to vreg[39]
v_accvgpr_read_b32 v[vgprValuC+16], acc36 // copy acc to vreg[40]
v_accvgpr_read_b32 v[vgprValuC+17], acc37 // copy acc to vreg[41]
v_accvgpr_read_b32 v[vgprValuC+18], acc44 // copy acc to vreg[42]
v_accvgpr_read_b32 v[vgprValuC+19], acc45 // copy acc to vreg[43]
v_accvgpr_read_b32 v[vgprValuC+20], acc38 // copy acc to vreg[44]
v_accvgpr_read_b32 v[vgprValuC+21], acc39 // copy acc to vreg[45]
v_accvgpr_read_b32 v[vgprValuC+22], acc46 // copy acc to vreg[46]
v_accvgpr_read_b32 v[vgprValuC+23], acc47 // copy acc to vreg[47]
s_nop 1                                            // 2 wait states required before reading vgpr

/* apply mask, calc new C and issue writes */
s_mul_i32 s32, s[sgprStrideD1J], 32                // scale StrideD *= numRows(4) * bpe
s_add_u32  s[sgprSrdD+0], s[sgprSrdD+0], s32       // incToNextRow: gra SRD += inc(lower)
s_addc_u32  s[sgprSrdD+1], s[sgprSrdD+1], 0        // incToNextRow: gra SRD += inc(upper)
_buffer_store_b128 v[8:11], v6, s[sgprSrdD:sgprSrdD+3], 0, offen, offset:0,  sc0 sc1 // store D
s_mul_i32 s32, s[sgprStrideD1J], 32                // scale StrideD *= numRows(4) * bpe
s_add_u32  s[sgprSrdD+0], s[sgprSrdD+0], s32       // incToNextRow: gra SRD += inc(lower)
s_addc_u32  s[sgprSrdD+1], s[sgprSrdD+1], 0        // incToNextRow: gra SRD += inc(upper)
_buffer_store_b128 v[12:15], v6, s[sgprSrdD:sgprSrdD+3], 0, offen, offset:0,  sc0 sc1 // store D
	;; [unrolled: 4-line block ×4, first 2 shown]
s_nop 0                                            // 1 wait state required when next inst writes vgprs held by previous dwordx4 store inst
/* optSingleColVgpr=1 optSharedColVgpr=0 optSGPRUsage=BufferLoad_Mask optSrdIncForRow=1 */

/******************************************/
/* Global Write Batch #3 (d1,d0,vc1,vc0) = */
/*    (12,0,0,0:vw2); (13,0,0,0:vw2); (14,0,0,0:vw2); (15,0,0,0:vw2) */
/******************************************/

/* calc coords, apply mask, and issue loads (if necessary) */
/* (d1,vc1,d0,vc0)=(12,0,0,0) */
/* (d1,vc1,d0,vc0)=(13,0,0,0) */
	;; [unrolled: 1-line block ×4, first 2 shown]
v_accvgpr_read_b32 v[vgprValuC+8], acc48 // copy acc to vreg[48]
v_accvgpr_read_b32 v[vgprValuC+9], acc49 // copy acc to vreg[49]
v_accvgpr_read_b32 v[vgprValuC+10], acc56 // copy acc to vreg[50]
v_accvgpr_read_b32 v[vgprValuC+11], acc57 // copy acc to vreg[51]
v_accvgpr_read_b32 v[vgprValuC+12], acc50 // copy acc to vreg[52]
v_accvgpr_read_b32 v[vgprValuC+13], acc51 // copy acc to vreg[53]
v_accvgpr_read_b32 v[vgprValuC+14], acc58 // copy acc to vreg[54]
v_accvgpr_read_b32 v[vgprValuC+15], acc59 // copy acc to vreg[55]
v_accvgpr_read_b32 v[vgprValuC+16], acc52 // copy acc to vreg[56]
v_accvgpr_read_b32 v[vgprValuC+17], acc53 // copy acc to vreg[57]
v_accvgpr_read_b32 v[vgprValuC+18], acc60 // copy acc to vreg[58]
v_accvgpr_read_b32 v[vgprValuC+19], acc61 // copy acc to vreg[59]
v_accvgpr_read_b32 v[vgprValuC+20], acc54 // copy acc to vreg[60]
v_accvgpr_read_b32 v[vgprValuC+21], acc55 // copy acc to vreg[61]
v_accvgpr_read_b32 v[vgprValuC+22], acc62 // copy acc to vreg[62]
v_accvgpr_read_b32 v[vgprValuC+23], acc63 // copy acc to vreg[63]
s_nop 1                                            // 2 wait states required before reading vgpr

/* apply mask, calc new C and issue writes */
s_mul_i32 s32, s[sgprStrideD1J], 32                // scale StrideD *= numRows(4) * bpe
s_add_u32  s[sgprSrdD+0], s[sgprSrdD+0], s32       // incToNextRow: gra SRD += inc(lower)
s_addc_u32  s[sgprSrdD+1], s[sgprSrdD+1], 0        // incToNextRow: gra SRD += inc(upper)
_buffer_store_b128 v[8:11], v6, s[sgprSrdD:sgprSrdD+3], 0, offen, offset:0,  sc0 sc1 // store D
s_mul_i32 s32, s[sgprStrideD1J], 32                // scale StrideD *= numRows(4) * bpe
s_add_u32  s[sgprSrdD+0], s[sgprSrdD+0], s32       // incToNextRow: gra SRD += inc(lower)
s_addc_u32  s[sgprSrdD+1], s[sgprSrdD+1], 0        // incToNextRow: gra SRD += inc(upper)
_buffer_store_b128 v[12:15], v6, s[sgprSrdD:sgprSrdD+3], 0, offen, offset:0,  sc0 sc1 // store D
	;; [unrolled: 4-line block ×4, first 2 shown]
s_nop 0                                            // 1 wait state required when next inst writes vgprs held by previous dwordx4 store inst
/* optSingleColVgpr=1 optSharedColVgpr=0 optSGPRUsage=BufferLoad_Mask optSrdIncForRow=1 */

/******************************************/
/* Global Write Batch #4 (d1,d0,vc1,vc0) = */
/*    (16,0,0,0:vw2); (17,0,0,0:vw2); (18,0,0,0:vw2); (19,0,0,0:vw2) */
/******************************************/

/* calc coords, apply mask, and issue loads (if necessary) */
/* (d1,vc1,d0,vc0)=(16,0,0,0) */
/* (d1,vc1,d0,vc0)=(17,0,0,0) */
	;; [unrolled: 1-line block ×4, first 2 shown]
v_accvgpr_read_b32 v[vgprValuC+8], acc64 // copy acc to vreg[64]
v_accvgpr_read_b32 v[vgprValuC+9], acc65 // copy acc to vreg[65]
v_accvgpr_read_b32 v[vgprValuC+10], acc72 // copy acc to vreg[66]
v_accvgpr_read_b32 v[vgprValuC+11], acc73 // copy acc to vreg[67]
v_accvgpr_read_b32 v[vgprValuC+12], acc66 // copy acc to vreg[68]
v_accvgpr_read_b32 v[vgprValuC+13], acc67 // copy acc to vreg[69]
v_accvgpr_read_b32 v[vgprValuC+14], acc74 // copy acc to vreg[70]
v_accvgpr_read_b32 v[vgprValuC+15], acc75 // copy acc to vreg[71]
v_accvgpr_read_b32 v[vgprValuC+16], acc68 // copy acc to vreg[72]
v_accvgpr_read_b32 v[vgprValuC+17], acc69 // copy acc to vreg[73]
v_accvgpr_read_b32 v[vgprValuC+18], acc76 // copy acc to vreg[74]
v_accvgpr_read_b32 v[vgprValuC+19], acc77 // copy acc to vreg[75]
v_accvgpr_read_b32 v[vgprValuC+20], acc70 // copy acc to vreg[76]
v_accvgpr_read_b32 v[vgprValuC+21], acc71 // copy acc to vreg[77]
v_accvgpr_read_b32 v[vgprValuC+22], acc78 // copy acc to vreg[78]
v_accvgpr_read_b32 v[vgprValuC+23], acc79 // copy acc to vreg[79]
s_nop 1                                            // 2 wait states required before reading vgpr

/* apply mask, calc new C and issue writes */
s_mul_i32 s32, s[sgprStrideD1J], 32                // scale StrideD *= numRows(4) * bpe
s_add_u32  s[sgprSrdD+0], s[sgprSrdD+0], s32       // incToNextRow: gra SRD += inc(lower)
s_addc_u32  s[sgprSrdD+1], s[sgprSrdD+1], 0        // incToNextRow: gra SRD += inc(upper)
_buffer_store_b128 v[8:11], v6, s[sgprSrdD:sgprSrdD+3], 0, offen, offset:0,  sc0 sc1 // store D
s_mul_i32 s32, s[sgprStrideD1J], 32                // scale StrideD *= numRows(4) * bpe
s_add_u32  s[sgprSrdD+0], s[sgprSrdD+0], s32       // incToNextRow: gra SRD += inc(lower)
s_addc_u32  s[sgprSrdD+1], s[sgprSrdD+1], 0        // incToNextRow: gra SRD += inc(upper)
_buffer_store_b128 v[12:15], v6, s[sgprSrdD:sgprSrdD+3], 0, offen, offset:0,  sc0 sc1 // store D
	;; [unrolled: 4-line block ×4, first 2 shown]
s_nop 0                                            // 1 wait state required when next inst writes vgprs held by previous dwordx4 store inst
/* optSingleColVgpr=1 optSharedColVgpr=0 optSGPRUsage=BufferLoad_Mask optSrdIncForRow=1 */

/******************************************/
/* Global Write Batch #5 (d1,d0,vc1,vc0) = */
/*    (20,0,0,0:vw2); (21,0,0,0:vw2); (22,0,0,0:vw2); (23,0,0,0:vw2) */
/******************************************/

/* calc coords, apply mask, and issue loads (if necessary) */
/* (d1,vc1,d0,vc0)=(20,0,0,0) */
/* (d1,vc1,d0,vc0)=(21,0,0,0) */
	;; [unrolled: 1-line block ×4, first 2 shown]
v_accvgpr_read_b32 v[vgprValuC+8], acc80 // copy acc to vreg[80]
v_accvgpr_read_b32 v[vgprValuC+9], acc81 // copy acc to vreg[81]
v_accvgpr_read_b32 v[vgprValuC+10], acc88 // copy acc to vreg[82]
v_accvgpr_read_b32 v[vgprValuC+11], acc89 // copy acc to vreg[83]
v_accvgpr_read_b32 v[vgprValuC+12], acc82 // copy acc to vreg[84]
v_accvgpr_read_b32 v[vgprValuC+13], acc83 // copy acc to vreg[85]
v_accvgpr_read_b32 v[vgprValuC+14], acc90 // copy acc to vreg[86]
v_accvgpr_read_b32 v[vgprValuC+15], acc91 // copy acc to vreg[87]
v_accvgpr_read_b32 v[vgprValuC+16], acc84 // copy acc to vreg[88]
v_accvgpr_read_b32 v[vgprValuC+17], acc85 // copy acc to vreg[89]
v_accvgpr_read_b32 v[vgprValuC+18], acc92 // copy acc to vreg[90]
v_accvgpr_read_b32 v[vgprValuC+19], acc93 // copy acc to vreg[91]
v_accvgpr_read_b32 v[vgprValuC+20], acc86 // copy acc to vreg[92]
v_accvgpr_read_b32 v[vgprValuC+21], acc87 // copy acc to vreg[93]
v_accvgpr_read_b32 v[vgprValuC+22], acc94 // copy acc to vreg[94]
v_accvgpr_read_b32 v[vgprValuC+23], acc95 // copy acc to vreg[95]
s_nop 1                                            // 2 wait states required before reading vgpr

/* apply mask, calc new C and issue writes */
s_mul_i32 s32, s[sgprStrideD1J], 32                // scale StrideD *= numRows(4) * bpe
s_add_u32  s[sgprSrdD+0], s[sgprSrdD+0], s32       // incToNextRow: gra SRD += inc(lower)
s_addc_u32  s[sgprSrdD+1], s[sgprSrdD+1], 0        // incToNextRow: gra SRD += inc(upper)
_buffer_store_b128 v[8:11], v6, s[sgprSrdD:sgprSrdD+3], 0, offen, offset:0,  sc0 sc1 // store D
s_mul_i32 s32, s[sgprStrideD1J], 32                // scale StrideD *= numRows(4) * bpe
s_add_u32  s[sgprSrdD+0], s[sgprSrdD+0], s32       // incToNextRow: gra SRD += inc(lower)
s_addc_u32  s[sgprSrdD+1], s[sgprSrdD+1], 0        // incToNextRow: gra SRD += inc(upper)
_buffer_store_b128 v[12:15], v6, s[sgprSrdD:sgprSrdD+3], 0, offen, offset:0,  sc0 sc1 // store D
	;; [unrolled: 4-line block ×4, first 2 shown]
s_nop 0                                            // 1 wait state required when next inst writes vgprs held by previous dwordx4 store inst
/* optSingleColVgpr=1 optSharedColVgpr=0 optSGPRUsage=BufferLoad_Mask optSrdIncForRow=1 */

/******************************************/
/* Global Write Batch #6 (d1,d0,vc1,vc0) = */
/*    (24,0,0,0:vw2); (25,0,0,0:vw2); (26,0,0,0:vw2); (27,0,0,0:vw2) */
/******************************************/

/* calc coords, apply mask, and issue loads (if necessary) */
/* (d1,vc1,d0,vc0)=(24,0,0,0) */
/* (d1,vc1,d0,vc0)=(25,0,0,0) */
	;; [unrolled: 1-line block ×4, first 2 shown]
v_accvgpr_read_b32 v[vgprValuC+8], acc96 // copy acc to vreg[96]
v_accvgpr_read_b32 v[vgprValuC+9], acc97 // copy acc to vreg[97]
v_accvgpr_read_b32 v[vgprValuC+10], acc104 // copy acc to vreg[98]
v_accvgpr_read_b32 v[vgprValuC+11], acc105 // copy acc to vreg[99]
v_accvgpr_read_b32 v[vgprValuC+12], acc98 // copy acc to vreg[100]
v_accvgpr_read_b32 v[vgprValuC+13], acc99 // copy acc to vreg[101]
v_accvgpr_read_b32 v[vgprValuC+14], acc106 // copy acc to vreg[102]
v_accvgpr_read_b32 v[vgprValuC+15], acc107 // copy acc to vreg[103]
v_accvgpr_read_b32 v[vgprValuC+16], acc100 // copy acc to vreg[104]
v_accvgpr_read_b32 v[vgprValuC+17], acc101 // copy acc to vreg[105]
v_accvgpr_read_b32 v[vgprValuC+18], acc108 // copy acc to vreg[106]
v_accvgpr_read_b32 v[vgprValuC+19], acc109 // copy acc to vreg[107]
v_accvgpr_read_b32 v[vgprValuC+20], acc102 // copy acc to vreg[108]
v_accvgpr_read_b32 v[vgprValuC+21], acc103 // copy acc to vreg[109]
v_accvgpr_read_b32 v[vgprValuC+22], acc110 // copy acc to vreg[110]
v_accvgpr_read_b32 v[vgprValuC+23], acc111 // copy acc to vreg[111]
s_nop 1                                            // 2 wait states required before reading vgpr

/* apply mask, calc new C and issue writes */
s_mul_i32 s32, s[sgprStrideD1J], 32                // scale StrideD *= numRows(4) * bpe
s_add_u32  s[sgprSrdD+0], s[sgprSrdD+0], s32       // incToNextRow: gra SRD += inc(lower)
s_addc_u32  s[sgprSrdD+1], s[sgprSrdD+1], 0        // incToNextRow: gra SRD += inc(upper)
_buffer_store_b128 v[8:11], v6, s[sgprSrdD:sgprSrdD+3], 0, offen, offset:0,  sc0 sc1 // store D
s_mul_i32 s32, s[sgprStrideD1J], 32                // scale StrideD *= numRows(4) * bpe
s_add_u32  s[sgprSrdD+0], s[sgprSrdD+0], s32       // incToNextRow: gra SRD += inc(lower)
s_addc_u32  s[sgprSrdD+1], s[sgprSrdD+1], 0        // incToNextRow: gra SRD += inc(upper)
_buffer_store_b128 v[12:15], v6, s[sgprSrdD:sgprSrdD+3], 0, offen, offset:0,  sc0 sc1 // store D
	;; [unrolled: 4-line block ×4, first 2 shown]
s_nop 0                                            // 1 wait state required when next inst writes vgprs held by previous dwordx4 store inst
s_branch label_GW_End_23                           // jump to end
label_GW_End_23:

s_endpgm                                           // Kernel End
OptNLL_End_17:


/******************************************/
/* Ord. NoLoadLoop - Begin                                      */
/******************************************/


	;; [unrolled: 1-line block ×4, first 2 shown]
/* iter 0 (last unrolled loop) */

/*  grEndMfmaIndex:0, lwStartMfmaIndex:101, lwEndMfmaIndex:101  */
/*  numMfmaForLR:8, barrierMfmaIndex:103, LocalWritePerMfma:0.220 */
/*  mfmaIndex:0  */
s_waitcnt lgkmcnt(0)                               // lgkmcnt=0 vmcnt=-1wait for prior local read local write old=0, new=0 newLW=0 newLR=0
v_mfma_f64_16x16x4_f64 a[0+0:7+0], v[vgprValuB_X0_I0+0+0+0:vgprValuB_X0_I0+0+0+0+1], v[vgprValuA_X0_I0+0+0+0:vgprValuA_X0_I0+0+0+0+1], a[0:7]
/*  mfmaIndex:1  */
_ds_load_b128 v[vgprValuA_X2_I0+0:vgprValuA_X2_I0+0+3], v[vgprLocalReadAddrA] offset:64 // L -> Reg lro=8 swapByteOffset=0 ti=128 vIdx=0 rIdx=0 oIdx=0 buffer=2 iui=0
v_mfma_f64_16x16x4_f64 a[8+0:15+0], v[vgprValuB_X0_I0+0+0+0:vgprValuB_X0_I0+0+0+0+1], v[vgprValuA_X0_I0+4+0+0:vgprValuA_X0_I0+4+0+0+1], a[8:15]
/*  mfmaIndex:2  */
_ds_load_b64 v[vgprValuB_X1_I0+0:vgprValuB_X1_I0+0+1], v[vgprLocalReadAddrB] offset:896 // L -> Reg lro=112 swapByteOffset=0 ti=16 vIdx=0 rIdx=0 oIdx=0 buffer=1 iui=0
v_mfma_f64_16x16x4_f64 a[24+0:31+0], v[vgprValuB_X0_I0+2+0+0:vgprValuB_X0_I0+2+0+0+1], v[vgprValuA_X0_I0+4+0+0:vgprValuA_X0_I0+4+0+0+1], a[24:31]
/*  mfmaIndex:3  */
_ds_load_b128 v[vgprValuA_X2_I0+4:vgprValuA_X2_I0+4+3], v[vgprLocalReadAddrA] offset:320 // L -> Reg lro=8 swapByteOffset=0 ti=128 vIdx=0 rIdx=0 oIdx=0 buffer=2 iui=0
v_mfma_f64_16x16x4_f64 a[16+0:23+0], v[vgprValuB_X0_I0+2+0+0:vgprValuB_X0_I0+2+0+0+1], v[vgprValuA_X0_I0+0+0+0:vgprValuA_X0_I0+0+0+0+1], a[16:23]
/*  mfmaIndex:4  */
_ds_load_b64 v[vgprValuB_X1_I0+2:vgprValuB_X1_I0+2+1], v[vgprLocalReadAddrB] offset:1024 // L -> Reg lro=112 swapByteOffset=0 ti=16 vIdx=1 rIdx=0 oIdx=0 buffer=1 iui=0
_ds_load_b64 v[vgprValuB_X1_I0+4:vgprValuB_X1_I0+4+1], v[vgprLocalReadAddrB] offset:1152 // L -> Reg lro=112 swapByteOffset=0 ti=16 vIdx=2 rIdx=0 oIdx=0 buffer=1 iui=0
v_mfma_f64_16x16x4_f64 a[32+0:39+0], v[vgprValuB_X0_I0+4+0+0:vgprValuB_X0_I0+4+0+0+1], v[vgprValuA_X0_I0+0+0+0:vgprValuA_X0_I0+0+0+0+1], a[32:39]
/*  mfmaIndex:5  */
_ds_load_b64 v[vgprValuB_X1_I0+6:vgprValuB_X1_I0+6+1], v[vgprLocalReadAddrB] offset:1280 // L -> Reg lro=112 swapByteOffset=0 ti=16 vIdx=3 rIdx=0 oIdx=0 buffer=1 iui=0
_ds_load_b64 v[vgprValuB_X1_I0+8:vgprValuB_X1_I0+8+1], v[vgprLocalReadAddrB] offset:1408 // L -> Reg lro=112 swapByteOffset=0 ti=16 vIdx=4 rIdx=0 oIdx=0 buffer=1 iui=0
	;; [unrolled: 4-line block ×3, first 2 shown]
/* localReadsVacancy: latencyLeft 1 */
v_mfma_f64_16x16x4_f64 a[56+0:63+0], v[vgprValuB_X0_I0+6+0+0:vgprValuB_X0_I0+6+0+0+1], v[vgprValuA_X0_I0+4+0+0:vgprValuA_X0_I0+4+0+0+1], a[56:63]
/*  mfmaIndex:7  */
/* localReadsVacancy: latencyLeft 5 */
_ds_load_b128 v[vgprValuA_X4_I0+0:vgprValuA_X4_I0+0+3], v[vgprLocalReadAddrA] offset:128 // L -> Reg lro=16 swapByteOffset=0 ti=128 vIdx=0 rIdx=0 oIdx=0 buffer=4 iui=0
v_mfma_f64_16x16x4_f64 a[48+0:55+0], v[vgprValuB_X0_I0+6+0+0:vgprValuB_X0_I0+6+0+0+1], v[vgprValuA_X0_I0+0+0+0:vgprValuA_X0_I0+0+0+0+1], a[48:55]
/*  mfmaIndex:8  */
/* localReadsVacancy: latencyLeft 5 */
_ds_load_b64 v[vgprValuB_X2_I0+0:vgprValuB_X2_I0+0+1], v[vgprLocalReadAddrB] offset:7168 // L -> Reg lro=896 swapByteOffset=0 ti=16 vIdx=0 rIdx=0 oIdx=0 buffer=2 iui=0
v_mfma_f64_16x16x4_f64 a[64+0:71+0], v[vgprValuB_X0_I0+8+0+0:vgprValuB_X0_I0+8+0+0+1], v[vgprValuA_X0_I0+0+0+0:vgprValuA_X0_I0+0+0+0+1], a[64:71]
/*  mfmaIndex:9  */
/* localReadsVacancy: latencyLeft 5 */
_ds_load_b128 v[vgprValuA_X4_I0+4:vgprValuA_X4_I0+4+3], v[vgprLocalReadAddrA] offset:384 // L -> Reg lro=16 swapByteOffset=0 ti=128 vIdx=0 rIdx=0 oIdx=0 buffer=4 iui=0
v_mfma_f64_16x16x4_f64 a[72+0:79+0], v[vgprValuB_X0_I0+8+0+0:vgprValuB_X0_I0+8+0+0+1], v[vgprValuA_X0_I0+4+0+0:vgprValuA_X0_I0+4+0+0+1], a[72:79]
/*  mfmaIndex:10  */
/* localReadsVacancy: latencyLeft 5 */
_ds_load_b64 v[vgprValuB_X2_I0+2:vgprValuB_X2_I0+2+1], v[vgprLocalReadAddrB] offset:7296 // L -> Reg lro=896 swapByteOffset=0 ti=16 vIdx=1 rIdx=0 oIdx=0 buffer=2 iui=0
_ds_load_b64 v[vgprValuB_X2_I0+4:vgprValuB_X2_I0+4+1], v[vgprLocalReadAddrB] offset:7424 // L -> Reg lro=896 swapByteOffset=0 ti=16 vIdx=2 rIdx=0 oIdx=0 buffer=2 iui=0
v_mfma_f64_16x16x4_f64 a[88+0:95+0], v[vgprValuB_X0_I0+10+0+0:vgprValuB_X0_I0+10+0+0+1], v[vgprValuA_X0_I0+4+0+0:vgprValuA_X0_I0+4+0+0+1], a[88:95]
/*  mfmaIndex:11  */
/* localReadsVacancy: latencyLeft 5 */
_ds_load_b64 v[vgprValuB_X2_I0+6:vgprValuB_X2_I0+6+1], v[vgprLocalReadAddrB] offset:7552 // L -> Reg lro=896 swapByteOffset=0 ti=16 vIdx=3 rIdx=0 oIdx=0 buffer=2 iui=0
_ds_load_b64 v[vgprValuB_X2_I0+8:vgprValuB_X2_I0+8+1], v[vgprLocalReadAddrB] offset:7680 // L -> Reg lro=896 swapByteOffset=0 ti=16 vIdx=4 rIdx=0 oIdx=0 buffer=2 iui=0
	;; [unrolled: 5-line block ×3, first 2 shown]
v_mfma_f64_16x16x4_f64 a[96+0:103+0], v[vgprValuB_X0_I0+12+0+0:vgprValuB_X0_I0+12+0+0+1], v[vgprValuA_X0_I0+0+0+0:vgprValuA_X0_I0+0+0+0+1], a[96:103]
/*  mfmaIndex:13  */
/* localReadsVacancy: latencyLeft 5 */
_ds_load_b128 v[vgprValuA_X6_I0+0:vgprValuA_X6_I0+0+3], v[vgprLocalReadAddrA] offset:192 // L -> Reg lro=24 swapByteOffset=0 ti=128 vIdx=0 rIdx=0 oIdx=0 buffer=6 iui=0
v_mfma_f64_16x16x4_f64 a[104+0:111+0], v[vgprValuB_X0_I0+12+0+0:vgprValuB_X0_I0+12+0+0+1], v[vgprValuA_X0_I0+4+0+0:vgprValuA_X0_I0+4+0+0+1], a[104:111]
/* numPrefetchIter=0 */
/* dataAtIterA=-1 numReadsIterA=1 skipReadsIterA=1 readsPerIterA=2 */
/* dataAtIterB=-1 numReadsIterB=1 skipReadsIterB=1 readsPerIterB=7 */


/* iter 1 (last unrolled loop) */

/*  grEndMfmaIndex:0, lwStartMfmaIndex:101, lwEndMfmaIndex:101  */
/*  numMfmaForLR:8, barrierMfmaIndex:103, LocalWritePerMfma:0.220 */
/*  mfmaIndex:14  */
/* localReadsVacancy: latencyLeft 5 */
_ds_load_b64 v[vgprValuB_X3_I0+0:vgprValuB_X3_I0+0+1], v[vgprLocalReadAddrB] offset:8064 // L -> Reg lro=1008 swapByteOffset=0 ti=16 vIdx=0 rIdx=0 oIdx=0 buffer=3 iui=0
s_waitcnt lgkmcnt(11)                              // lgkmcnt=0 vmcnt=-1wait for prior local read local write old=9, new=9 newLW=0 newLR=0
v_mfma_f64_16x16x4_f64 a[0+0:7+0], v[vgprValuB_X1_I0+0+0+0:vgprValuB_X1_I0+0+0+0+1], v[vgprValuA_X0_I0+0+2+0:vgprValuA_X0_I0+0+2+0+1], a[0:7]
/*  mfmaIndex:15  */
/* localReadsVacancy: latencyLeft 5 */
_ds_load_b128 v[vgprValuA_X6_I0+4:vgprValuA_X6_I0+4+3], v[vgprLocalReadAddrA] offset:448 // L -> Reg lro=24 swapByteOffset=0 ti=128 vIdx=0 rIdx=0 oIdx=0 buffer=6 iui=0
v_mfma_f64_16x16x4_f64 a[8+0:15+0], v[vgprValuB_X1_I0+0+0+0:vgprValuB_X1_I0+0+0+0+1], v[vgprValuA_X0_I0+4+2+0:vgprValuA_X0_I0+4+2+0+1], a[8:15]
/*  mfmaIndex:16  */
/* localReadsVacancy: latencyLeft 5 */
_ds_load_b64 v[vgprValuB_X3_I0+2:vgprValuB_X3_I0+2+1], v[vgprLocalReadAddrB] offset:8192 // L -> Reg lro=1008 swapByteOffset=0 ti=16 vIdx=1 rIdx=0 oIdx=0 buffer=3 iui=0
_ds_load_b64 v[vgprValuB_X3_I0+4:vgprValuB_X3_I0+4+1], v[vgprLocalReadAddrB] offset:8320 // L -> Reg lro=1008 swapByteOffset=0 ti=16 vIdx=2 rIdx=0 oIdx=0 buffer=3 iui=0
v_mfma_f64_16x16x4_f64 a[24+0:31+0], v[vgprValuB_X1_I0+2+0+0:vgprValuB_X1_I0+2+0+0+1], v[vgprValuA_X0_I0+4+2+0:vgprValuA_X0_I0+4+2+0+1], a[24:31]
/*  mfmaIndex:17  */
/* localReadsVacancy: latencyLeft 5 */
_ds_load_b64 v[vgprValuB_X3_I0+6:vgprValuB_X3_I0+6+1], v[vgprLocalReadAddrB] offset:8448 // L -> Reg lro=1008 swapByteOffset=0 ti=16 vIdx=3 rIdx=0 oIdx=0 buffer=3 iui=0
_ds_load_b64 v[vgprValuB_X3_I0+8:vgprValuB_X3_I0+8+1], v[vgprLocalReadAddrB] offset:8576 // L -> Reg lro=1008 swapByteOffset=0 ti=16 vIdx=4 rIdx=0 oIdx=0 buffer=3 iui=0
	;; [unrolled: 5-line block ×3, first 2 shown]
v_mfma_f64_16x16x4_f64 a[32+0:39+0], v[vgprValuB_X1_I0+4+0+0:vgprValuB_X1_I0+4+0+0+1], v[vgprValuA_X0_I0+0+2+0:vgprValuA_X0_I0+0+2+0+1], a[32:39]
/*  mfmaIndex:19  */
/* localReadsVacancy: latencyLeft 5 */
_ds_load_b64 v[vgprValuB_X4_I0+0:vgprValuB_X4_I0+0+1], v[vgprLocalReadAddrB] offset:14336 // L -> Reg lro=1792 swapByteOffset=0 ti=16 vIdx=0 rIdx=0 oIdx=0 buffer=4 iui=0
_ds_load_b64 v[vgprValuB_X4_I0+2:vgprValuB_X4_I0+2+1], v[vgprLocalReadAddrB] offset:14464 // L -> Reg lro=1792 swapByteOffset=0 ti=16 vIdx=1 rIdx=0 oIdx=0 buffer=4 iui=0
v_mfma_f64_16x16x4_f64 a[40+0:47+0], v[vgprValuB_X1_I0+4+0+0:vgprValuB_X1_I0+4+0+0+1], v[vgprValuA_X0_I0+4+2+0:vgprValuA_X0_I0+4+2+0+1], a[40:47]
/*  mfmaIndex:20  */
/* localReadsVacancy: latencyLeft 5 */
_ds_load_b64 v[vgprValuB_X4_I0+4:vgprValuB_X4_I0+4+1], v[vgprLocalReadAddrB] offset:14592 // L -> Reg lro=1792 swapByteOffset=0 ti=16 vIdx=2 rIdx=0 oIdx=0 buffer=4 iui=0
_ds_load_b64 v[vgprValuB_X4_I0+6:vgprValuB_X4_I0+6+1], v[vgprLocalReadAddrB] offset:14720 // L -> Reg lro=1792 swapByteOffset=0 ti=16 vIdx=3 rIdx=0 oIdx=0 buffer=4 iui=0
	;; [unrolled: 5-line block ×3, first 2 shown]
v_mfma_f64_16x16x4_f64 a[48+0:55+0], v[vgprValuB_X1_I0+6+0+0:vgprValuB_X1_I0+6+0+0+1], v[vgprValuA_X0_I0+0+2+0:vgprValuA_X0_I0+0+2+0+1], a[48:55]
/*  mfmaIndex:22  */
/* localReadsVacancy: latencyLeft 5 */
_ds_load_b64 v[vgprValuB_X4_I0+12:vgprValuB_X4_I0+12+1], v[vgprLocalReadAddrB] offset:15104 // L -> Reg lro=1792 swapByteOffset=0 ti=16 vIdx=6 rIdx=0 oIdx=0 buffer=4 iui=0
_ds_load_b64 v[vgprValuB_X5_I0+0:vgprValuB_X5_I0+0+1], v[vgprLocalReadAddrB] offset:15232 // L -> Reg lro=1904 swapByteOffset=0 ti=16 vIdx=0 rIdx=0 oIdx=0 buffer=5 iui=0
v_mfma_f64_16x16x4_f64 a[64+0:71+0], v[vgprValuB_X1_I0+8+0+0:vgprValuB_X1_I0+8+0+0+1], v[vgprValuA_X0_I0+0+2+0:vgprValuA_X0_I0+0+2+0+1], a[64:71]
/*  mfmaIndex:23  */
/* localReadsVacancy: latencyLeft 5 */
_ds_load_b64 v[vgprValuB_X5_I0+2:vgprValuB_X5_I0+2+1], v[vgprLocalReadAddrB] offset:15360 // L -> Reg lro=1904 swapByteOffset=0 ti=16 vIdx=1 rIdx=0 oIdx=0 buffer=5 iui=0
_ds_load_b64 v[vgprValuB_X5_I0+4:vgprValuB_X5_I0+4+1], v[vgprLocalReadAddrB] offset:15488 // L -> Reg lro=1904 swapByteOffset=0 ti=16 vIdx=2 rIdx=0 oIdx=0 buffer=5 iui=0
v_mfma_f64_16x16x4_f64 a[72+0:79+0], v[vgprValuB_X1_I0+8+0+0:vgprValuB_X1_I0+8+0+0+1], v[vgprValuA_X0_I0+4+2+0:vgprValuA_X0_I0+4+2+0+1], a[72:79]
/*  mfmaIndex:24  */
/* localReadsVacancy: latencyLeft 5 */
_ds_load_b64 v[vgprValuB_X5_I0+6:vgprValuB_X5_I0+6+1], v[vgprLocalReadAddrB] offset:15616 // L -> Reg lro=1904 swapByteOffset=0 ti=16 vIdx=3 rIdx=0 oIdx=0 buffer=5 iui=0
	;; [unrolled: 5-line block ×3, first 2 shown]
_ds_load_b64 v[vgprValuB_X5_I0+12:vgprValuB_X5_I0+12+1], v[vgprLocalReadAddrB] offset:16000 // L -> Reg lro=1904 swapByteOffset=0 ti=16 vIdx=6 rIdx=0 oIdx=0 buffer=5 iui=0
v_mfma_f64_16x16x4_f64 a[80+0:87+0], v[vgprValuB_X1_I0+10+0+0:vgprValuB_X1_I0+10+0+0+1], v[vgprValuA_X0_I0+0+2+0:vgprValuA_X0_I0+0+2+0+1], a[80:87]
/*  mfmaIndex:26  */
/* localReadsVacancy: latencyLeft 5 */
_ds_load_b64 v[vgprValuB_X6_I0+0:vgprValuB_X6_I0+0+1], v[vgprLocalReadAddrB] offset:21504 // L -> Reg lro=2688 swapByteOffset=0 ti=16 vIdx=0 rIdx=0 oIdx=0 buffer=6 iui=0
_ds_load_b64 v[vgprValuB_X6_I0+2:vgprValuB_X6_I0+2+1], v[vgprLocalReadAddrB] offset:21632 // L -> Reg lro=2688 swapByteOffset=0 ti=16 vIdx=1 rIdx=0 oIdx=0 buffer=6 iui=0
v_mfma_f64_16x16x4_f64 a[96+0:103+0], v[vgprValuB_X1_I0+12+0+0:vgprValuB_X1_I0+12+0+0+1], v[vgprValuA_X0_I0+0+2+0:vgprValuA_X0_I0+0+2+0+1], a[96:103]
/*  mfmaIndex:27  */
/* localReadsVacancy: latencyLeft 5 */
_ds_load_b64 v[vgprValuB_X6_I0+4:vgprValuB_X6_I0+4+1], v[vgprLocalReadAddrB] offset:21760 // L -> Reg lro=2688 swapByteOffset=0 ti=16 vIdx=2 rIdx=0 oIdx=0 buffer=6 iui=0
_ds_load_b64 v[vgprValuB_X6_I0+6:vgprValuB_X6_I0+6+1], v[vgprLocalReadAddrB] offset:21888 // L -> Reg lro=2688 swapByteOffset=0 ti=16 vIdx=3 rIdx=0 oIdx=0 buffer=6 iui=0
v_mfma_f64_16x16x4_f64 a[104+0:111+0], v[vgprValuB_X1_I0+12+0+0:vgprValuB_X1_I0+12+0+0+1], v[vgprValuA_X0_I0+4+2+0:vgprValuA_X0_I0+4+2+0+1], a[104:111]
/* numPrefetchIter=0 */
/* dataAtIterA=-1 numReadsIterA=2 skipReadsIterA=0 readsPerIterA=2 */
/* dataAtIterB=0 numReadsIterB=2 skipReadsIterB=1 readsPerIterB=7 */


/* iter 2 (last unrolled loop) */

/*  grEndMfmaIndex:0, lwStartMfmaIndex:101, lwEndMfmaIndex:101  */
/*  numMfmaForLR:8, barrierMfmaIndex:103, LocalWritePerMfma:0.220 */
/*  mfmaIndex:28  */
/* localReadsVacancy: latencyLeft 5 */
_ds_load_b64 v[vgprValuB_X6_I0+8:vgprValuB_X6_I0+8+1], v[vgprLocalReadAddrB] offset:22016 // L -> Reg lro=2688 swapByteOffset=0 ti=16 vIdx=4 rIdx=0 oIdx=0 buffer=6 iui=0
_ds_load_b64 v[vgprValuB_X6_I0+10:vgprValuB_X6_I0+10+1], v[vgprLocalReadAddrB] offset:22144 // L -> Reg lro=2688 swapByteOffset=0 ti=16 vIdx=5 rIdx=0 oIdx=0 buffer=6 iui=0
s_waitcnt lgkmcnt(15)                              // lgkmcnt=0 vmcnt=-1wait for prior local read local write old=8, new=8 newLW=0 newLR=0
v_mfma_f64_16x16x4_f64 a[0+0:7+0], v[vgprValuB_X2_I0+0+0+0:vgprValuB_X2_I0+0+0+0+1], v[vgprValuA_X2_I0+0+0+0:vgprValuA_X2_I0+0+0+0+1], a[0:7]
/*  mfmaIndex:29  */
/* localReadsVacancy: latencyLeft 5 */
_ds_load_b64 v[vgprValuB_X6_I0+12:vgprValuB_X6_I0+12+1], v[vgprLocalReadAddrB] offset:22272 // L -> Reg lro=2688 swapByteOffset=0 ti=16 vIdx=6 rIdx=0 oIdx=0 buffer=6 iui=0
_ds_load_b64 v[vgprValuB_X7_I0+0:vgprValuB_X7_I0+0+1], v[vgprLocalReadAddrB] offset:22400 // L -> Reg lro=2800 swapByteOffset=0 ti=16 vIdx=0 rIdx=0 oIdx=0 buffer=7 iui=0
v_mfma_f64_16x16x4_f64 a[8+0:15+0], v[vgprValuB_X2_I0+0+0+0:vgprValuB_X2_I0+0+0+0+1], v[vgprValuA_X2_I0+4+0+0:vgprValuA_X2_I0+4+0+0+1], a[8:15]
/*  mfmaIndex:30  */
/* localReadsVacancy: latencyLeft 5 */
_ds_load_b64 v[vgprValuB_X7_I0+2:vgprValuB_X7_I0+2+1], v[vgprLocalReadAddrB] offset:22528 // L -> Reg lro=2800 swapByteOffset=0 ti=16 vIdx=1 rIdx=0 oIdx=0 buffer=7 iui=0
_ds_load_b64 v[vgprValuB_X7_I0+4:vgprValuB_X7_I0+4+1], v[vgprLocalReadAddrB] offset:22656 // L -> Reg lro=2800 swapByteOffset=0 ti=16 vIdx=2 rIdx=0 oIdx=0 buffer=7 iui=0
v_mfma_f64_16x16x4_f64 a[24+0:31+0], v[vgprValuB_X2_I0+2+0+0:vgprValuB_X2_I0+2+0+0+1], v[vgprValuA_X2_I0+4+0+0:vgprValuA_X2_I0+4+0+0+1], a[24:31]
/*  mfmaIndex:31  */
/* localReadsVacancy: latencyLeft 5 */
_ds_load_b64 v[vgprValuB_X7_I0+6:vgprValuB_X7_I0+6+1], v[vgprLocalReadAddrB] offset:22784 // L -> Reg lro=2800 swapByteOffset=0 ti=16 vIdx=3 rIdx=0 oIdx=0 buffer=7 iui=0
	;; [unrolled: 5-line block ×3, first 2 shown]
_ds_load_b64 v[vgprValuB_X7_I0+12:vgprValuB_X7_I0+12+1], v[vgprLocalReadAddrB] offset:23168 // L -> Reg lro=2800 swapByteOffset=0 ti=16 vIdx=6 rIdx=0 oIdx=0 buffer=7 iui=0
v_mfma_f64_16x16x4_f64 a[32+0:39+0], v[vgprValuB_X2_I0+4+0+0:vgprValuB_X2_I0+4+0+0+1], v[vgprValuA_X2_I0+0+0+0:vgprValuA_X2_I0+0+0+0+1], a[32:39]
/*  mfmaIndex:33  */
/* localReadsVacancy: latencyLeft 5 */
v_mfma_f64_16x16x4_f64 a[40+0:47+0], v[vgprValuB_X2_I0+4+0+0:vgprValuB_X2_I0+4+0+0+1], v[vgprValuA_X2_I0+4+0+0:vgprValuA_X2_I0+4+0+0+1], a[40:47]
/*  mfmaIndex:34  */
/* localReadsVacancy: latencyLeft 5 */
	;; [unrolled: 3-line block ×9, first 2 shown]
v_mfma_f64_16x16x4_f64 a[104+0:111+0], v[vgprValuB_X2_I0+12+0+0:vgprValuB_X2_I0+12+0+0+1], v[vgprValuA_X2_I0+4+0+0:vgprValuA_X2_I0+4+0+0+1], a[104:111]
/* numPrefetchIter=0 */
/* dataAtIterA=0 numReadsIterA=3 skipReadsIterA=0 readsPerIterA=2 */
/* dataAtIterB=1 numReadsIterB=3 skipReadsIterB=1 readsPerIterB=7 */


/* iter 3 (last unrolled loop) */

/*  grEndMfmaIndex:0, lwStartMfmaIndex:101, lwEndMfmaIndex:101  */
/*  numMfmaForLR:8, barrierMfmaIndex:103, LocalWritePerMfma:0.220 */
/*  mfmaIndex:42  */
/* localReadsVacancy: latencyLeft 5 */
s_waitcnt lgkmcnt(15)                              // lgkmcnt=0 vmcnt=-1wait for prior local read local write old=7, new=7 newLW=0 newLR=0
v_mfma_f64_16x16x4_f64 a[0+0:7+0], v[vgprValuB_X3_I0+0+0+0:vgprValuB_X3_I0+0+0+0+1], v[vgprValuA_X2_I0+0+2+0:vgprValuA_X2_I0+0+2+0+1], a[0:7]
/*  mfmaIndex:43  */
/* localReadsVacancy: latencyLeft 5 */
v_mfma_f64_16x16x4_f64 a[8+0:15+0], v[vgprValuB_X3_I0+0+0+0:vgprValuB_X3_I0+0+0+0+1], v[vgprValuA_X2_I0+4+2+0:vgprValuA_X2_I0+4+2+0+1], a[8:15]
/*  mfmaIndex:44  */
/* localReadsVacancy: latencyLeft 5 */
	;; [unrolled: 3-line block ×13, first 2 shown]
v_mfma_f64_16x16x4_f64 a[104+0:111+0], v[vgprValuB_X3_I0+12+0+0:vgprValuB_X3_I0+12+0+0+1], v[vgprValuA_X2_I0+4+2+0:vgprValuA_X2_I0+4+2+0+1], a[104:111]
/* numPrefetchIter=0 */
/* dataAtIterA=0 numReadsIterA=3 skipReadsIterA=0 readsPerIterA=2 */
/* dataAtIterB=2 numReadsIterB=4 skipReadsIterB=1 readsPerIterB=7 */


/* iter 4 (last unrolled loop) */

/*  grEndMfmaIndex:0, lwStartMfmaIndex:101, lwEndMfmaIndex:101  */
/*  numMfmaForLR:8, barrierMfmaIndex:103, LocalWritePerMfma:0.220 */
/*  mfmaIndex:56  */
/* localReadsVacancy: latencyLeft 5 */
s_waitcnt lgkmcnt(15)                              // lgkmcnt=0 vmcnt=-1wait for prior local read local write old=7, new=7 newLW=0 newLR=0
v_mfma_f64_16x16x4_f64 a[0+0:7+0], v[vgprValuB_X4_I0+0+0+0:vgprValuB_X4_I0+0+0+0+1], v[vgprValuA_X4_I0+0+0+0:vgprValuA_X4_I0+0+0+0+1], a[0:7]
/*  mfmaIndex:57  */
/* localReadsVacancy: latencyLeft 5 */
v_mfma_f64_16x16x4_f64 a[8+0:15+0], v[vgprValuB_X4_I0+0+0+0:vgprValuB_X4_I0+0+0+0+1], v[vgprValuA_X4_I0+4+0+0:vgprValuA_X4_I0+4+0+0+1], a[8:15]
/*  mfmaIndex:58  */
/* localReadsVacancy: latencyLeft 5 */
	;; [unrolled: 3-line block ×13, first 2 shown]
v_mfma_f64_16x16x4_f64 a[104+0:111+0], v[vgprValuB_X4_I0+12+0+0:vgprValuB_X4_I0+12+0+0+1], v[vgprValuA_X4_I0+4+0+0:vgprValuA_X4_I0+4+0+0+1], a[104:111]
/* numPrefetchIter=0 */
/* dataAtIterA=1 numReadsIterA=3 skipReadsIterA=0 readsPerIterA=2 */
/* dataAtIterB=3 numReadsIterB=5 skipReadsIterB=1 readsPerIterB=7 */


/* iter 5 (last unrolled loop) */

/*  grEndMfmaIndex:0, lwStartMfmaIndex:101, lwEndMfmaIndex:101  */
/*  numMfmaForLR:8, barrierMfmaIndex:103, LocalWritePerMfma:0.220 */
/*  mfmaIndex:70  */
/* localReadsVacancy: latencyLeft 5 */
s_waitcnt lgkmcnt(14)                              // lgkmcnt=0 vmcnt=-1wait for prior local read local write old=7, new=7 newLW=0 newLR=0
v_mfma_f64_16x16x4_f64 a[0+0:7+0], v[vgprValuB_X5_I0+0+0+0:vgprValuB_X5_I0+0+0+0+1], v[vgprValuA_X4_I0+0+2+0:vgprValuA_X4_I0+0+2+0+1], a[0:7]
/*  mfmaIndex:71  */
/* localReadsVacancy: latencyLeft 5 */
v_mfma_f64_16x16x4_f64 a[8+0:15+0], v[vgprValuB_X5_I0+0+0+0:vgprValuB_X5_I0+0+0+0+1], v[vgprValuA_X4_I0+4+2+0:vgprValuA_X4_I0+4+2+0+1], a[8:15]
/*  mfmaIndex:72  */
/* localReadsVacancy: latencyLeft 5 */
	;; [unrolled: 3-line block ×13, first 2 shown]
v_mfma_f64_16x16x4_f64 a[104+0:111+0], v[vgprValuB_X5_I0+12+0+0:vgprValuB_X5_I0+12+0+0+1], v[vgprValuA_X4_I0+4+2+0:vgprValuA_X4_I0+4+2+0+1], a[104:111]
/* numPrefetchIter=0 */
/* dataAtIterA=1 numReadsIterA=3 skipReadsIterA=0 readsPerIterA=2 */
/* dataAtIterB=4 numReadsIterB=6 skipReadsIterB=1 readsPerIterB=7 */


/* iter 6 (last unrolled loop) */

/*  grEndMfmaIndex:0, lwStartMfmaIndex:101, lwEndMfmaIndex:101  */
/*  numMfmaForLR:8, barrierMfmaIndex:103, LocalWritePerMfma:0.220 */
/*  mfmaIndex:84  */
/* localReadsVacancy: latencyLeft 5 */
s_waitcnt lgkmcnt(7)                               // lgkmcnt=0 vmcnt=-1wait for prior local read local write old=7, new=7 newLW=0 newLR=0
v_mfma_f64_16x16x4_f64 a[0+0:7+0], v[vgprValuB_X6_I0+0+0+0:vgprValuB_X6_I0+0+0+0+1], v[vgprValuA_X6_I0+0+0+0:vgprValuA_X6_I0+0+0+0+1], a[0:7]
/*  mfmaIndex:85  */
/* localReadsVacancy: latencyLeft 5 */
v_mfma_f64_16x16x4_f64 a[8+0:15+0], v[vgprValuB_X6_I0+0+0+0:vgprValuB_X6_I0+0+0+0+1], v[vgprValuA_X6_I0+4+0+0:vgprValuA_X6_I0+4+0+0+1], a[8:15]
/*  mfmaIndex:86  */
/* localReadsVacancy: latencyLeft 5 */
v_mfma_f64_16x16x4_f64 a[24+0:31+0], v[vgprValuB_X6_I0+2+0+0:vgprValuB_X6_I0+2+0+0+1], v[vgprValuA_X6_I0+4+0+0:vgprValuA_X6_I0+4+0+0+1], a[24:31]
/*  mfmaIndex:87  */
/* localReadsVacancy: latencyLeft 5 */
v_mfma_f64_16x16x4_f64 a[16+0:23+0], v[vgprValuB_X6_I0+2+0+0:vgprValuB_X6_I0+2+0+0+1], v[vgprValuA_X6_I0+0+0+0:vgprValuA_X6_I0+0+0+0+1], a[16:23]
/*  mfmaIndex:88  */
/* localReadsVacancy: latencyLeft 5 */
v_mfma_f64_16x16x4_f64 a[32+0:39+0], v[vgprValuB_X6_I0+4+0+0:vgprValuB_X6_I0+4+0+0+1], v[vgprValuA_X6_I0+0+0+0:vgprValuA_X6_I0+0+0+0+1], a[32:39]
/*  mfmaIndex:89  */
/* localReadsVacancy: latencyLeft 5 */
v_mfma_f64_16x16x4_f64 a[40+0:47+0], v[vgprValuB_X6_I0+4+0+0:vgprValuB_X6_I0+4+0+0+1], v[vgprValuA_X6_I0+4+0+0:vgprValuA_X6_I0+4+0+0+1], a[40:47]
/*  mfmaIndex:90  */
/* localReadsVacancy: latencyLeft 5 */
v_mfma_f64_16x16x4_f64 a[56+0:63+0], v[vgprValuB_X6_I0+6+0+0:vgprValuB_X6_I0+6+0+0+1], v[vgprValuA_X6_I0+4+0+0:vgprValuA_X6_I0+4+0+0+1], a[56:63]
/*  mfmaIndex:91  */
/* localReadsVacancy: latencyLeft 5 */
v_mfma_f64_16x16x4_f64 a[48+0:55+0], v[vgprValuB_X6_I0+6+0+0:vgprValuB_X6_I0+6+0+0+1], v[vgprValuA_X6_I0+0+0+0:vgprValuA_X6_I0+0+0+0+1], a[48:55]
/*  mfmaIndex:92  */
/* localReadsVacancy: latencyLeft 5 */
v_mfma_f64_16x16x4_f64 a[64+0:71+0], v[vgprValuB_X6_I0+8+0+0:vgprValuB_X6_I0+8+0+0+1], v[vgprValuA_X6_I0+0+0+0:vgprValuA_X6_I0+0+0+0+1], a[64:71]
/*  mfmaIndex:93  */
/* localReadsVacancy: latencyLeft 5 */
v_mfma_f64_16x16x4_f64 a[72+0:79+0], v[vgprValuB_X6_I0+8+0+0:vgprValuB_X6_I0+8+0+0+1], v[vgprValuA_X6_I0+4+0+0:vgprValuA_X6_I0+4+0+0+1], a[72:79]
/*  mfmaIndex:94  */
/* localReadsVacancy: latencyLeft 5 */
v_mfma_f64_16x16x4_f64 a[88+0:95+0], v[vgprValuB_X6_I0+10+0+0:vgprValuB_X6_I0+10+0+0+1], v[vgprValuA_X6_I0+4+0+0:vgprValuA_X6_I0+4+0+0+1], a[88:95]
/*  mfmaIndex:95  */
/* localReadsVacancy: latencyLeft 5 */
v_mfma_f64_16x16x4_f64 a[80+0:87+0], v[vgprValuB_X6_I0+10+0+0:vgprValuB_X6_I0+10+0+0+1], v[vgprValuA_X6_I0+0+0+0:vgprValuA_X6_I0+0+0+0+1], a[80:87]
/*  mfmaIndex:96  */
/* localReadsVacancy: latencyLeft 5 */
v_mfma_f64_16x16x4_f64 a[96+0:103+0], v[vgprValuB_X6_I0+12+0+0:vgprValuB_X6_I0+12+0+0+1], v[vgprValuA_X6_I0+0+0+0:vgprValuA_X6_I0+0+0+0+1], a[96:103]
/*  mfmaIndex:97  */
/* localReadsVacancy: latencyLeft 5 */
v_mfma_f64_16x16x4_f64 a[104+0:111+0], v[vgprValuB_X6_I0+12+0+0:vgprValuB_X6_I0+12+0+0+1], v[vgprValuA_X6_I0+4+0+0:vgprValuA_X6_I0+4+0+0+1], a[104:111]
/* numPrefetchIter=0 */
/* dataAtIterA=2 numReadsIterA=3 skipReadsIterA=0 readsPerIterA=2 */
/* dataAtIterB=5 numReadsIterB=7 skipReadsIterB=1 readsPerIterB=7 */


/* iter 7 (last unrolled loop) */

/*  grEndMfmaIndex:0, lwStartMfmaIndex:101, lwEndMfmaIndex:101  */
/*  numMfmaForLR:8, barrierMfmaIndex:103, LocalWritePerMfma:0.220 */
/*  mfmaIndex:98  */
s_waitcnt lgkmcnt(0)                               // lgkmcnt=0 vmcnt=-1wait for prior local read local write old=0, new=0 newLW=0 newLR=0
v_mfma_f64_16x16x4_f64 a[0+0:7+0], v[vgprValuB_X7_I0+0+0+0:vgprValuB_X7_I0+0+0+0+1], v[vgprValuA_X6_I0+0+2+0:vgprValuA_X6_I0+0+2+0+1], a[0:7]
/*  mfmaIndex:99  */
v_mfma_f64_16x16x4_f64 a[8+0:15+0], v[vgprValuB_X7_I0+0+0+0:vgprValuB_X7_I0+0+0+0+1], v[vgprValuA_X6_I0+4+2+0:vgprValuA_X6_I0+4+2+0+1], a[8:15]
/*  mfmaIndex:100  */
/* 1 LDS buffer: read-sync-write */
s_waitcnt lgkmcnt(0)                               // 
s_barrier                                          // 
v_mfma_f64_16x16x4_f64 a[24+0:31+0], v[vgprValuB_X7_I0+2+0+0:vgprValuB_X7_I0+2+0+0+1], v[vgprValuA_X6_I0+4+2+0:vgprValuA_X6_I0+4+2+0+1], a[24:31]
/*  mfmaIndex:101  */
v_mfma_f64_16x16x4_f64 a[16+0:23+0], v[vgprValuB_X7_I0+2+0+0:vgprValuB_X7_I0+2+0+0+1], v[vgprValuA_X6_I0+0+2+0:vgprValuA_X6_I0+0+2+0+1], a[16:23]
/*  mfmaIndex:102  */
	;; [unrolled: 2-line block ×11, first 2 shown]
v_mfma_f64_16x16x4_f64 a[104+0:111+0], v[vgprValuB_X7_I0+12+0+0:vgprValuB_X7_I0+12+0+0+1], v[vgprValuA_X6_I0+4+2+0:vgprValuA_X6_I0+4+2+0+1], a[104:111]
/* numPrefetchIter=0 */
/* dataAtIterA=2 numReadsIterA=3 skipReadsIterA=0 readsPerIterA=2 */
/* dataAtIterB=6 numReadsIterB=7 skipReadsIterB=0 readsPerIterB=7 */

PrefetchGlobalLastIterEnd_5:


/******************************************/
/* Tail Loop                              */
/******************************************/


/* local write reset offsets a */


	;; [unrolled: 1-line block ×4, first 2 shown]
/* local write reset offsets b */


	;; [unrolled: 1-line block ×4, first 2 shown]
//numIterL = (((sizeL % LOCAL_DEPTHU) + LOCAL_SPLITU - 1) / LOCAL_SPLITU)
s_and_b32 s[sgprLoopCounterL], 31, s[sgprSizesSum+0] // s[sgprLoopCounterL] = s[sgprSizesSum+0] % 32
s_cmp_eq_u32 s[sgprLoopCounterL], 0x0              // numIterL == 0
s_cbranch_scc1 SkipTailLoopL_8                     // skip to end of tail loop b/c numIter==0
s_mov_b32 s[sgprOrigLoopCounter], 0                // repurpose to count each localRead increment


/* Update M0 for DTLDS */


	;; [unrolled: 1-line block ×3, first 2 shown]
/* global read a */

/* g2l=0, load component 0 */
_buffer_load_b64 v[vgprG2LA+0+0:vgprG2LA+0+0+1], v[vgprGlobalReadOffsetA+0], s[sgprSrdA:sgprSrdA+3], 0, offen offset:0 // load one buffer value
/* g2l=0, load component 1 */
_buffer_load_b64 v[vgprG2LA+0+2:vgprG2LA+0+2+1], v[vgprGlobalReadOffsetA+0], s[sgprSrdA:sgprSrdA+3], 0, offen offset:8 // load one buffer value
/* g2l=4, load component 0 */
_buffer_load_b64 v[vgprG2LA+4+0:vgprG2LA+4+0+1], v[vgprGlobalReadOffsetA+0], s[sgprSrdA:sgprSrdA+3], s[sgprScalarGlobalReadOffsetA+0], offen offset:0 // load one buffer value
/* g2l=4, load component 1 */
_buffer_load_b64 v[vgprG2LA+4+2:vgprG2LA+4+2+1], v[vgprGlobalReadOffsetA+0], s[sgprSrdA:sgprSrdA+3], s[sgprScalarGlobalReadOffsetA+0], offen offset:8 // load one buffer value
	;; [unrolled: 2-line block ×14, first 2 shown]


/* Update M0 for DTLDS */


	;; [unrolled: 1-line block ×3, first 2 shown]
/* global read b */

/* g2l=0, load component 0 */
_buffer_load_b64 v[vgprG2LB+0+0:vgprG2LB+0+0+1], v[vgprGlobalReadOffsetB+0], s[sgprSrdB:sgprSrdB+3], 0, offen offset:0 // load one buffer value
/* g2l=0, load component 1 */
_buffer_load_b64 v[vgprG2LB+0+2:vgprG2LB+0+2+1], v[vgprGlobalReadOffsetB+0], s[sgprSrdB:sgprSrdB+3], 0, offen offset:8 // load one buffer value
/* g2l=4, load component 0 */
_buffer_load_b64 v[vgprG2LB+4+0:vgprG2LB+4+0+1], v[vgprGlobalReadOffsetB+0], s[sgprSrdB:sgprSrdB+3], s[sgprScalarGlobalReadOffsetB+0], offen offset:0 // load one buffer value
/* g2l=4, load component 1 */
_buffer_load_b64 v[vgprG2LB+4+2:vgprG2LB+4+2+1], v[vgprGlobalReadOffsetB+0], s[sgprSrdB:sgprSrdB+3], s[sgprScalarGlobalReadOffsetB+0], offen offset:8 // load one buffer value
	;; [unrolled: 2-line block ×12, first 2 shown]

s_waitcnt vmcnt(0)                                 // lgkmcnt=-1 vmcnt=02wait for global read

// Skip force waitcnt0
s_barrier //


/* Done global A/B reads */


	;; [unrolled: 1-line block ×4, first 2 shown]
/* local write a */

_ds_store_b128 v[vgprLocalWriteAddrA], v[vgprG2LA+0:vgprG2LA+0+3] offset:0 // lwoA_0_0_0_0 = (0*LSCA)*(MT0I+PAD) + (0*LSPA) = 0
_ds_store_b128 v[vgprLocalWriteAddrA], v[vgprG2LA+4:vgprG2LA+4+3] offset:4352 // lwoA_0_0_1_0 = (0*LSCA)*(MT0I+PAD) + (1*LSPA) = 4352
_ds_store_b128 v[vgprLocalWriteAddrA], v[vgprG2LA+8:vgprG2LA+8+3] offset:8704 // lwoA_0_0_2_0 = (0*LSCA)*(MT0I+PAD) + (2*LSPA) = 8704
_ds_store_b128 v[vgprLocalWriteAddrA], v[vgprG2LA+12:vgprG2LA+12+3] offset:13056 // lwoA_0_0_3_0 = (0*LSCA)*(MT0I+PAD) + (3*LSPA) = 13056
_ds_store_b128 v[vgprLocalWriteAddrA], v[vgprG2LA+16:vgprG2LA+16+3] offset:17408 // lwoA_0_0_4_0 = (0*LSCA)*(MT0I+PAD) + (4*LSPA) = 17408
_ds_store_b128 v[vgprLocalWriteAddrA], v[vgprG2LA+20:vgprG2LA+20+3] offset:21760 // lwoA_0_0_5_0 = (0*LSCA)*(MT0I+PAD) + (5*LSPA) = 21760
_ds_store_b128 v[vgprLocalWriteAddrA], v[vgprG2LA+24:vgprG2LA+24+3] offset:26112 // lwoA_0_0_6_0 = (0*LSCA)*(MT0I+PAD) + (6*LSPA) = 26112
_ds_store_b128 v[vgprLocalWriteAddrA], v[vgprG2LA+28:vgprG2LA+28+3] offset:30464 // lwoA_0_0_7_0 = (0*LSCA)*(MT0I+PAD) + (7*LSPA) = 30464


/* local write b */

_ds_store_b128 v[vgprLocalWriteAddrB], v[vgprG2LB+0:vgprG2LB+0+3] offset:0 // lwoB_0_0_0_0 = (0*LSCB) + (0*LSPB)(*MT1J+PAD) = 0
_ds_store_b128 v[vgprLocalWriteAddrB], v[vgprG2LB+4:vgprG2LB+4+3] offset:128 // lwoB_1_0_0_0 = (1*LSCB) + (0*LSPB)(*MT1J+PAD) = 128
_ds_store_b128 v[vgprLocalWriteAddrB], v[vgprG2LB+8:vgprG2LB+8+3] offset:256 // lwoB_2_0_0_0 = (2*LSCB) + (0*LSPB)(*MT1J+PAD) = 256
_ds_store_b128 v[vgprLocalWriteAddrB], v[vgprG2LB+12:vgprG2LB+12+3] offset:384 // lwoB_3_0_0_0 = (3*LSCB) + (0*LSPB)(*MT1J+PAD) = 384
_ds_store_b128 v[vgprLocalWriteAddrB], v[vgprG2LB+16:vgprG2LB+16+3] offset:512 // lwoB_4_0_0_0 = (4*LSCB) + (0*LSPB)(*MT1J+PAD) = 512
_ds_store_b128 v[vgprLocalWriteAddrB], v[vgprG2LB+20:vgprG2LB+20+3] offset:640 // lwoB_5_0_0_0 = (5*LSCB) + (0*LSPB)(*MT1J+PAD) = 640
_ds_store_b128 v[vgprLocalWriteAddrB], v[vgprG2LB+24:vgprG2LB+24+3] offset:768 // lwoB_6_0_0_0 = (6*LSCB) + (0*LSPB)(*MT1J+PAD) = 768


/* Recalc local read offsets */

/*lr0I*/
v_and_b32 v212, 63, v[vgprSerial]                  // 0. thread id in wave: wtid = tid % wavelength(64)
v_and_b32 v211, 15, v212                           // 1. N offset: nIdx = wtid % MI_N(16)
v_lshlrev_b32 v211, 0x5, v211                      // 1. N offset: nOffset = nIdx * nStride(32)
                                                   // 2. block offset: bnIdx = bnIdx % num1DBlocks(1) is 0. do nothing
v_lshlrev_b32 v211, 0x1, v211                      // 4. apply VectorWidth: bnOffset = bnOffset * vw(2)
v_lshrrev_b32 v212, 4, v212                        // 5. K offset: kIdx = wtid / (MIN(16) * MIBB(1))
                                                   // 5. K offset: lrKOffset = kIdx * mStride(1) (multiplier is 1, do nothing)
_v_add_u32 v211, v212, v211                        // 6. offset in wave: lrOffset = bnOffset + lrKOffset
v_lshrrev_b32 v213, 6, v[vgprSerial]               // 7. wave offset in N dimen: wtid = tid / dividedForWaveId(64)
v_and_b32 v212, 3, v213                            // 7. wave offset in M dimen: wtid0 = wtid / num1DWaves(4)
v_lshlrev_b32 v212, 0xa, v212                      // 7. wave offset in M dimen: wOffset = wtid0 * W0Stride(1024)
_v_add_u32 v211, v212, v211                        // 8. final local read offset: flrOffset = lrOffset + WOffset
/*lr1J*/
v_and_b32 v213, 63, v[vgprSerial]                  // 0. thread id in wave: wtid = tid % wavelength(64)
v_and_b32 v212, 15, v213                           // 1. N offset: nIdx = wtid % MI_N(16)
                                                   // 1. N offset: nOffset = nIdx * nStride(1) (multiplier is 1, do nothing)
                                                   // 2. block offset: bnIdx = bnIdx % num1DBlocks(1) is 0. do nothing
                                                   // 4. apply VectorWidth: bnOffset = bnOffset * vw(1) (multiplier is 1, do nothing)
v_lshrrev_b32 v213, 4, v213                        // 5. K offset: kIdx = wtid / (MIN(16) * MIBB(1))
s_mov_b32 s31, 0x70                                // 5. K offset: lrKOffset = kIdx * mStride(112)
v_mul_lo_u32 v213, s31, v213                       // 5. K offset: lrKOffset = kIdx * mStride(112)
_v_add_u32 v212, v213, v212                        // 6. offset in wave: lrOffset = bnOffset + lrKOffset
v_lshlrev_b32 v[vgprLocalReadAddrA], 0x3, v211     // Final Offset: offset = (lro0)*bpe
v_lshrrev_b32 v211, 9, v[vgprLocalReadAddrA]       // Final Offset: padding 4 per block 512
v_lshlrev_b32 v211, 0x5, v211                      // Final Offset: padding 4 per block 512
_v_add_u32 v[vgprLocalReadAddrA], v211, v[vgprLocalReadAddrA] // Final Offset: add padding 4 per block 512
/* N/A */
v_lshlrev_b32 v[vgprLocalReadAddrB], 0x3, v212     // Final Offset: offset = (lro1)*bpe
_v_add_co_u32 v[vgprLocalReadAddrB+0], vcc, 0x8800, v[vgprLocalReadAddrB+0] //  += LdsOffsetB (lower)

s_waitcnt lgkmcnt(0)                               // lgkmcnt=0 vmcnt=-15wait for local write

// Skip force waitcnt0
s_barrier //


/* local read reset offsets a */


	;; [unrolled: 1-line block ×3, first 2 shown]
/* local read reset offsets b */


	;; [unrolled: 1-line block ×3, first 2 shown]
/* local read init pointers a */


/* localReadInitPointers */


/* local read init pointers b */


/* localReadInitPointers */


/* tail loop: macs */

TailLoopBeginL_6:


/* tail loop unroll iter 0 */


/* local read a */

_ds_load_b64 v[vgprValuA_X0_I0+0:vgprValuA_X0_I0+0+1], v[vgprLocalReadAddrA] offset:0 // L -> Reg lro=0 swapByteOffset=0 ti=128 vIdx=0 rIdx=0 oIdx=0 buffer=0 iui=0
_ds_load_b64 v[vgprValuA_X0_I0+2:vgprValuA_X0_I0+2+1], v[vgprLocalReadAddrA] offset:256 // L -> Reg lro=0 swapByteOffset=0 ti=128 vIdx=0 rIdx=0 oIdx=0 buffer=0 iui=0


/* local read b */

_ds_load_b64 v[vgprValuB_X0_I0+0:vgprValuB_X0_I0+0+1], v[vgprLocalReadAddrB] offset:0 // L -> Reg lro=0 swapByteOffset=0 ti=16 vIdx=0 rIdx=0 oIdx=0 buffer=0 iui=0
_ds_load_b64 v[vgprValuB_X0_I0+2:vgprValuB_X0_I0+2+1], v[vgprLocalReadAddrB] offset:128 // L -> Reg lro=0 swapByteOffset=0 ti=16 vIdx=1 rIdx=0 oIdx=0 buffer=0 iui=0
	;; [unrolled: 1-line block ×7, first 2 shown]


/* local read inc a */

s_mov_b32 s31, 0x20                                // inc
_v_add_co_u32 v[vgprLocalReadAddrA], vcc, s31, v[vgprLocalReadAddrA] // lrA += 32 (LSU*bpe)


/* local read inc b */

s_mov_b32 s31, 0xe00                               // inc
_v_add_co_u32 v[vgprLocalReadAddrB], vcc, s31, v[vgprLocalReadAddrB] // lrB += 3584 (LSU*(MT+PAD)*bpe)

s_waitcnt lgkmcnt(0)                               // lgkmcnt=0 vmcnt=-14wait for local read



/* tail loop mfma iter 0: numReadsIterCoalescedA=1, numReadsIterCoalescedB=1 */
v_and_b32 v211, 63, v[vgprSerial]                  // v211 = v[vgprSerial] % 64
v_lshrrev_b32 v211, 4, v211                        // v211 = v211 / 16
                                                   // v211 = v211 * 1 (multiplier is 1, do nothing)
v_cmp_ge_i32 s[32:33], v211, s[sgprLoopCounterL]   // check K index >= Size L
v_cndmask_b32 v[vgprValuA_X0_I0+0+0+0+0], v[vgprValuA_X0_I0+0+0+0+0], 0x0, s[32:33] // set 0 if K_idx >= sizeL
v_cndmask_b32 v[vgprValuA_X0_I0+2+0+0+0], v[vgprValuA_X0_I0+2+0+0+0], 0x0, s[32:33] // set 0 if K_idx >= sizeL
v_cndmask_b32 v[vgprValuA_X0_I0+0+0+0+1], v[vgprValuA_X0_I0+0+0+0+1], 0x0, s[32:33] // set 0 if K_idx >= sizeL
v_cndmask_b32 v[vgprValuA_X0_I0+2+0+0+1], v[vgprValuA_X0_I0+2+0+0+1], 0x0, s[32:33] // set 0 if K_idx >= sizeL
s_nop 1
v_mfma_f64_16x16x4_f64 a[0+0:7+0], v[vgprValuB_X0_I0+0+0+0:vgprValuB_X0_I0+0+0+0+1], v[vgprValuA_X0_I0+0+0+0:vgprValuA_X0_I0+0+0+0+1], a[0:7]
v_mfma_f64_16x16x4_f64 a[8+0:15+0], v[vgprValuB_X0_I0+0+0+0:vgprValuB_X0_I0+0+0+0+1], v[vgprValuA_X0_I0+2+0+0:vgprValuA_X0_I0+2+0+0+1], a[8:15]
v_mfma_f64_16x16x4_f64 a[24+0:31+0], v[vgprValuB_X0_I0+2+0+0:vgprValuB_X0_I0+2+0+0+1], v[vgprValuA_X0_I0+2+0+0:vgprValuA_X0_I0+2+0+0+1], a[24:31]
v_mfma_f64_16x16x4_f64 a[16+0:23+0], v[vgprValuB_X0_I0+2+0+0:vgprValuB_X0_I0+2+0+0+1], v[vgprValuA_X0_I0+0+0+0:vgprValuA_X0_I0+0+0+0+1], a[16:23]
v_mfma_f64_16x16x4_f64 a[32+0:39+0], v[vgprValuB_X0_I0+4+0+0:vgprValuB_X0_I0+4+0+0+1], v[vgprValuA_X0_I0+0+0+0:vgprValuA_X0_I0+0+0+0+1], a[32:39]
v_mfma_f64_16x16x4_f64 a[40+0:47+0], v[vgprValuB_X0_I0+4+0+0:vgprValuB_X0_I0+4+0+0+1], v[vgprValuA_X0_I0+2+0+0:vgprValuA_X0_I0+2+0+0+1], a[40:47]
v_mfma_f64_16x16x4_f64 a[56+0:63+0], v[vgprValuB_X0_I0+6+0+0:vgprValuB_X0_I0+6+0+0+1], v[vgprValuA_X0_I0+2+0+0:vgprValuA_X0_I0+2+0+0+1], a[56:63]
v_mfma_f64_16x16x4_f64 a[48+0:55+0], v[vgprValuB_X0_I0+6+0+0:vgprValuB_X0_I0+6+0+0+1], v[vgprValuA_X0_I0+0+0+0:vgprValuA_X0_I0+0+0+0+1], a[48:55]
v_mfma_f64_16x16x4_f64 a[64+0:71+0], v[vgprValuB_X0_I0+8+0+0:vgprValuB_X0_I0+8+0+0+1], v[vgprValuA_X0_I0+0+0+0:vgprValuA_X0_I0+0+0+0+1], a[64:71]
v_mfma_f64_16x16x4_f64 a[72+0:79+0], v[vgprValuB_X0_I0+8+0+0:vgprValuB_X0_I0+8+0+0+1], v[vgprValuA_X0_I0+2+0+0:vgprValuA_X0_I0+2+0+0+1], a[72:79]
v_mfma_f64_16x16x4_f64 a[88+0:95+0], v[vgprValuB_X0_I0+10+0+0:vgprValuB_X0_I0+10+0+0+1], v[vgprValuA_X0_I0+2+0+0:vgprValuA_X0_I0+2+0+0+1], a[88:95]
v_mfma_f64_16x16x4_f64 a[80+0:87+0], v[vgprValuB_X0_I0+10+0+0:vgprValuB_X0_I0+10+0+0+1], v[vgprValuA_X0_I0+0+0+0:vgprValuA_X0_I0+0+0+0+1], a[80:87]
v_mfma_f64_16x16x4_f64 a[96+0:103+0], v[vgprValuB_X0_I0+12+0+0:vgprValuB_X0_I0+12+0+0+1], v[vgprValuA_X0_I0+0+0+0:vgprValuA_X0_I0+0+0+0+1], a[96:103]
v_mfma_f64_16x16x4_f64 a[104+0:111+0], v[vgprValuB_X0_I0+12+0+0:vgprValuB_X0_I0+12+0+0+1], v[vgprValuA_X0_I0+2+0+0:vgprValuA_X0_I0+2+0+0+1], a[104:111]


/* closeLoop loopL finalLoop=0 tailLoop=1 */
s_sub_i32 s[sgprLoopCounterL], s[sgprLoopCounterL], 0x4 // dec counterL (tailLoop)
s_add_u32 s[sgprOrigLoopCounter], s[sgprOrigLoopCounter], 0x4 // inc counterL
s_cmp_le_i32 s[sgprLoopCounterL], 0x0              // counterL<=0
s_cbranch_scc1 TailLoopEndL_7                      // exit LoopL


/* tail loop unroll iter 1 */


/* local read a */

_ds_load_b64 v[vgprValuA_X1_I0+0:vgprValuA_X1_I0+0+1], v[vgprLocalReadAddrA] offset:0 // L -> Reg lro=0 swapByteOffset=0 ti=128 vIdx=0 rIdx=0 oIdx=0 buffer=1 iui=0
_ds_load_b64 v[vgprValuA_X1_I0+2:vgprValuA_X1_I0+2+1], v[vgprLocalReadAddrA] offset:256 // L -> Reg lro=0 swapByteOffset=0 ti=128 vIdx=0 rIdx=0 oIdx=0 buffer=1 iui=0


/* local read b */

_ds_load_b64 v[vgprValuB_X1_I0+0:vgprValuB_X1_I0+0+1], v[vgprLocalReadAddrB] offset:0 // L -> Reg lro=0 swapByteOffset=0 ti=16 vIdx=0 rIdx=0 oIdx=0 buffer=1 iui=0
_ds_load_b64 v[vgprValuB_X1_I0+2:vgprValuB_X1_I0+2+1], v[vgprLocalReadAddrB] offset:128 // L -> Reg lro=0 swapByteOffset=0 ti=16 vIdx=1 rIdx=0 oIdx=0 buffer=1 iui=0
	;; [unrolled: 1-line block ×7, first 2 shown]


/* local read inc a */

s_mov_b32 s31, 0x20                                // inc
_v_add_co_u32 v[vgprLocalReadAddrA], vcc, s31, v[vgprLocalReadAddrA] // lrA += 32 (LSU*bpe)


/* local read inc b */

s_mov_b32 s31, 0xe00                               // inc
_v_add_co_u32 v[vgprLocalReadAddrB], vcc, s31, v[vgprLocalReadAddrB] // lrB += 3584 (LSU*(MT+PAD)*bpe)

s_waitcnt lgkmcnt(0)                               // lgkmcnt=0 vmcnt=-14wait for local read


	;; [unrolled: 1-line block ×3, first 2 shown]
/* tail loop mfma iter 1: numReadsIterCoalescedA=1, numReadsIterCoalescedB=1 */
v_and_b32 v211, 63, v[vgprSerial]                  // v211 = v[vgprSerial] % 64
v_lshrrev_b32 v211, 4, v211                        // v211 = v211 / 16
                                                   // v211 = v211 * 1 (multiplier is 1, do nothing)
v_cmp_ge_i32 s[32:33], v211, s[sgprLoopCounterL]   // check K index >= Size L
v_cndmask_b32 v[vgprValuA_X1_I0+0+0+0+0], v[vgprValuA_X1_I0+0+0+0+0], 0x0, s[32:33] // set 0 if K_idx >= sizeL
v_cndmask_b32 v[vgprValuA_X1_I0+2+0+0+0], v[vgprValuA_X1_I0+2+0+0+0], 0x0, s[32:33] // set 0 if K_idx >= sizeL
	;; [unrolled: 1-line block ×4, first 2 shown]
s_nop 1
v_mfma_f64_16x16x4_f64 a[0+0:7+0], v[vgprValuB_X1_I0+0+0+0:vgprValuB_X1_I0+0+0+0+1], v[vgprValuA_X1_I0+0+0+0:vgprValuA_X1_I0+0+0+0+1], a[0:7]
v_mfma_f64_16x16x4_f64 a[8+0:15+0], v[vgprValuB_X1_I0+0+0+0:vgprValuB_X1_I0+0+0+0+1], v[vgprValuA_X1_I0+2+0+0:vgprValuA_X1_I0+2+0+0+1], a[8:15]
	;; [unrolled: 1-line block ×14, first 2 shown]


/* closeLoop loopL finalLoop=0 tailLoop=1 */
s_sub_i32 s[sgprLoopCounterL], s[sgprLoopCounterL], 0x4 // dec counterL (tailLoop)
s_add_u32 s[sgprOrigLoopCounter], s[sgprOrigLoopCounter], 0x4 // inc counterL
s_cmp_le_i32 s[sgprLoopCounterL], 0x0              // counterL<=0
s_cbranch_scc1 TailLoopEndL_7                      // exit LoopL


/* tail loop unroll iter 2 */


/* local read a */

_ds_load_b64 v[vgprValuA_X2_I0+0:vgprValuA_X2_I0+0+1], v[vgprLocalReadAddrA] offset:0 // L -> Reg lro=0 swapByteOffset=0 ti=128 vIdx=0 rIdx=0 oIdx=0 buffer=2 iui=0
_ds_load_b64 v[vgprValuA_X2_I0+2:vgprValuA_X2_I0+2+1], v[vgprLocalReadAddrA] offset:256 // L -> Reg lro=0 swapByteOffset=0 ti=128 vIdx=0 rIdx=0 oIdx=0 buffer=2 iui=0


/* local read b */

_ds_load_b64 v[vgprValuB_X2_I0+0:vgprValuB_X2_I0+0+1], v[vgprLocalReadAddrB] offset:0 // L -> Reg lro=0 swapByteOffset=0 ti=16 vIdx=0 rIdx=0 oIdx=0 buffer=2 iui=0
_ds_load_b64 v[vgprValuB_X2_I0+2:vgprValuB_X2_I0+2+1], v[vgprLocalReadAddrB] offset:128 // L -> Reg lro=0 swapByteOffset=0 ti=16 vIdx=1 rIdx=0 oIdx=0 buffer=2 iui=0
	;; [unrolled: 1-line block ×7, first 2 shown]


/* local read inc a */

s_mov_b32 s31, 0x20                                // inc
_v_add_co_u32 v[vgprLocalReadAddrA], vcc, s31, v[vgprLocalReadAddrA] // lrA += 32 (LSU*bpe)


/* local read inc b */

s_mov_b32 s31, 0xe00                               // inc
_v_add_co_u32 v[vgprLocalReadAddrB], vcc, s31, v[vgprLocalReadAddrB] // lrB += 3584 (LSU*(MT+PAD)*bpe)

s_waitcnt lgkmcnt(0)                               // lgkmcnt=0 vmcnt=-14wait for local read


	;; [unrolled: 1-line block ×3, first 2 shown]
/* tail loop mfma iter 2: numReadsIterCoalescedA=1, numReadsIterCoalescedB=1 */
v_and_b32 v211, 63, v[vgprSerial]                  // v211 = v[vgprSerial] % 64
v_lshrrev_b32 v211, 4, v211                        // v211 = v211 / 16
                                                   // v211 = v211 * 1 (multiplier is 1, do nothing)
v_cmp_ge_i32 s[32:33], v211, s[sgprLoopCounterL]   // check K index >= Size L
v_cndmask_b32 v[vgprValuA_X2_I0+0+0+0+0], v[vgprValuA_X2_I0+0+0+0+0], 0x0, s[32:33] // set 0 if K_idx >= sizeL
v_cndmask_b32 v[vgprValuA_X2_I0+2+0+0+0], v[vgprValuA_X2_I0+2+0+0+0], 0x0, s[32:33] // set 0 if K_idx >= sizeL
	;; [unrolled: 1-line block ×4, first 2 shown]
s_nop 1
v_mfma_f64_16x16x4_f64 a[0+0:7+0], v[vgprValuB_X2_I0+0+0+0:vgprValuB_X2_I0+0+0+0+1], v[vgprValuA_X2_I0+0+0+0:vgprValuA_X2_I0+0+0+0+1], a[0:7]
v_mfma_f64_16x16x4_f64 a[8+0:15+0], v[vgprValuB_X2_I0+0+0+0:vgprValuB_X2_I0+0+0+0+1], v[vgprValuA_X2_I0+2+0+0:vgprValuA_X2_I0+2+0+0+1], a[8:15]
	;; [unrolled: 1-line block ×14, first 2 shown]


/* closeLoop loopL finalLoop=0 tailLoop=1 */
s_sub_i32 s[sgprLoopCounterL], s[sgprLoopCounterL], 0x4 // dec counterL (tailLoop)
s_add_u32 s[sgprOrigLoopCounter], s[sgprOrigLoopCounter], 0x4 // inc counterL
s_cmp_le_i32 s[sgprLoopCounterL], 0x0              // counterL<=0
s_cbranch_scc1 TailLoopEndL_7                      // exit LoopL


/* tail loop unroll iter 3 */


/* local read a */

_ds_load_b64 v[vgprValuA_X3_I0+0:vgprValuA_X3_I0+0+1], v[vgprLocalReadAddrA] offset:0 // L -> Reg lro=0 swapByteOffset=0 ti=128 vIdx=0 rIdx=0 oIdx=0 buffer=3 iui=0
_ds_load_b64 v[vgprValuA_X3_I0+2:vgprValuA_X3_I0+2+1], v[vgprLocalReadAddrA] offset:256 // L -> Reg lro=0 swapByteOffset=0 ti=128 vIdx=0 rIdx=0 oIdx=0 buffer=3 iui=0


/* local read b */

_ds_load_b64 v[vgprValuB_X3_I0+0:vgprValuB_X3_I0+0+1], v[vgprLocalReadAddrB] offset:0 // L -> Reg lro=0 swapByteOffset=0 ti=16 vIdx=0 rIdx=0 oIdx=0 buffer=3 iui=0
_ds_load_b64 v[vgprValuB_X3_I0+2:vgprValuB_X3_I0+2+1], v[vgprLocalReadAddrB] offset:128 // L -> Reg lro=0 swapByteOffset=0 ti=16 vIdx=1 rIdx=0 oIdx=0 buffer=3 iui=0
	;; [unrolled: 1-line block ×7, first 2 shown]


/* local read inc a */

s_mov_b32 s31, 0x20                                // inc
_v_add_co_u32 v[vgprLocalReadAddrA], vcc, s31, v[vgprLocalReadAddrA] // lrA += 32 (LSU*bpe)


/* local read inc b */

s_mov_b32 s31, 0xe00                               // inc
_v_add_co_u32 v[vgprLocalReadAddrB], vcc, s31, v[vgprLocalReadAddrB] // lrB += 3584 (LSU*(MT+PAD)*bpe)

s_waitcnt lgkmcnt(0)                               // lgkmcnt=0 vmcnt=-14wait for local read


	;; [unrolled: 1-line block ×3, first 2 shown]
/* tail loop mfma iter 3: numReadsIterCoalescedA=1, numReadsIterCoalescedB=1 */
v_and_b32 v211, 63, v[vgprSerial]                  // v211 = v[vgprSerial] % 64
v_lshrrev_b32 v211, 4, v211                        // v211 = v211 / 16
                                                   // v211 = v211 * 1 (multiplier is 1, do nothing)
v_cmp_ge_i32 s[32:33], v211, s[sgprLoopCounterL]   // check K index >= Size L
v_cndmask_b32 v[vgprValuA_X3_I0+0+0+0+0], v[vgprValuA_X3_I0+0+0+0+0], 0x0, s[32:33] // set 0 if K_idx >= sizeL
v_cndmask_b32 v[vgprValuA_X3_I0+2+0+0+0], v[vgprValuA_X3_I0+2+0+0+0], 0x0, s[32:33] // set 0 if K_idx >= sizeL
v_cndmask_b32 v[vgprValuA_X3_I0+0+0+0+1], v[vgprValuA_X3_I0+0+0+0+1], 0x0, s[32:33] // set 0 if K_idx >= sizeL
v_cndmask_b32 v[vgprValuA_X3_I0+2+0+0+1], v[vgprValuA_X3_I0+2+0+0+1], 0x0, s[32:33] // set 0 if K_idx >= sizeL
s_nop 1
v_mfma_f64_16x16x4_f64 a[0+0:7+0], v[vgprValuB_X3_I0+0+0+0:vgprValuB_X3_I0+0+0+0+1], v[vgprValuA_X3_I0+0+0+0:vgprValuA_X3_I0+0+0+0+1], a[0:7]
v_mfma_f64_16x16x4_f64 a[8+0:15+0], v[vgprValuB_X3_I0+0+0+0:vgprValuB_X3_I0+0+0+0+1], v[vgprValuA_X3_I0+2+0+0:vgprValuA_X3_I0+2+0+0+1], a[8:15]
v_mfma_f64_16x16x4_f64 a[24+0:31+0], v[vgprValuB_X3_I0+2+0+0:vgprValuB_X3_I0+2+0+0+1], v[vgprValuA_X3_I0+2+0+0:vgprValuA_X3_I0+2+0+0+1], a[24:31]
v_mfma_f64_16x16x4_f64 a[16+0:23+0], v[vgprValuB_X3_I0+2+0+0:vgprValuB_X3_I0+2+0+0+1], v[vgprValuA_X3_I0+0+0+0:vgprValuA_X3_I0+0+0+0+1], a[16:23]
v_mfma_f64_16x16x4_f64 a[32+0:39+0], v[vgprValuB_X3_I0+4+0+0:vgprValuB_X3_I0+4+0+0+1], v[vgprValuA_X3_I0+0+0+0:vgprValuA_X3_I0+0+0+0+1], a[32:39]
v_mfma_f64_16x16x4_f64 a[40+0:47+0], v[vgprValuB_X3_I0+4+0+0:vgprValuB_X3_I0+4+0+0+1], v[vgprValuA_X3_I0+2+0+0:vgprValuA_X3_I0+2+0+0+1], a[40:47]
v_mfma_f64_16x16x4_f64 a[56+0:63+0], v[vgprValuB_X3_I0+6+0+0:vgprValuB_X3_I0+6+0+0+1], v[vgprValuA_X3_I0+2+0+0:vgprValuA_X3_I0+2+0+0+1], a[56:63]
v_mfma_f64_16x16x4_f64 a[48+0:55+0], v[vgprValuB_X3_I0+6+0+0:vgprValuB_X3_I0+6+0+0+1], v[vgprValuA_X3_I0+0+0+0:vgprValuA_X3_I0+0+0+0+1], a[48:55]
v_mfma_f64_16x16x4_f64 a[64+0:71+0], v[vgprValuB_X3_I0+8+0+0:vgprValuB_X3_I0+8+0+0+1], v[vgprValuA_X3_I0+0+0+0:vgprValuA_X3_I0+0+0+0+1], a[64:71]
v_mfma_f64_16x16x4_f64 a[72+0:79+0], v[vgprValuB_X3_I0+8+0+0:vgprValuB_X3_I0+8+0+0+1], v[vgprValuA_X3_I0+2+0+0:vgprValuA_X3_I0+2+0+0+1], a[72:79]
v_mfma_f64_16x16x4_f64 a[88+0:95+0], v[vgprValuB_X3_I0+10+0+0:vgprValuB_X3_I0+10+0+0+1], v[vgprValuA_X3_I0+2+0+0:vgprValuA_X3_I0+2+0+0+1], a[88:95]
v_mfma_f64_16x16x4_f64 a[80+0:87+0], v[vgprValuB_X3_I0+10+0+0:vgprValuB_X3_I0+10+0+0+1], v[vgprValuA_X3_I0+0+0+0:vgprValuA_X3_I0+0+0+0+1], a[80:87]
v_mfma_f64_16x16x4_f64 a[96+0:103+0], v[vgprValuB_X3_I0+12+0+0:vgprValuB_X3_I0+12+0+0+1], v[vgprValuA_X3_I0+0+0+0:vgprValuA_X3_I0+0+0+0+1], a[96:103]
v_mfma_f64_16x16x4_f64 a[104+0:111+0], v[vgprValuB_X3_I0+12+0+0:vgprValuB_X3_I0+12+0+0+1], v[vgprValuA_X3_I0+2+0+0:vgprValuA_X3_I0+2+0+0+1], a[104:111]


/* closeLoop loopL finalLoop=0 tailLoop=1 */
s_sub_i32 s[sgprLoopCounterL], s[sgprLoopCounterL], 0x4 // dec counterL (tailLoop)
s_add_u32 s[sgprOrigLoopCounter], s[sgprOrigLoopCounter], 0x4 // inc counterL
s_cmp_le_i32 s[sgprLoopCounterL], 0x0              // counterL<=0
s_cbranch_scc1 TailLoopEndL_7                      // exit LoopL


/* tail loop unroll iter 4 */


/* local read a */

_ds_load_b64 v[vgprValuA_X4_I0+0:vgprValuA_X4_I0+0+1], v[vgprLocalReadAddrA] offset:0 // L -> Reg lro=0 swapByteOffset=0 ti=128 vIdx=0 rIdx=0 oIdx=0 buffer=4 iui=0
_ds_load_b64 v[vgprValuA_X4_I0+2:vgprValuA_X4_I0+2+1], v[vgprLocalReadAddrA] offset:256 // L -> Reg lro=0 swapByteOffset=0 ti=128 vIdx=0 rIdx=0 oIdx=0 buffer=4 iui=0


/* local read b */

_ds_load_b64 v[vgprValuB_X4_I0+0:vgprValuB_X4_I0+0+1], v[vgprLocalReadAddrB] offset:0 // L -> Reg lro=0 swapByteOffset=0 ti=16 vIdx=0 rIdx=0 oIdx=0 buffer=4 iui=0
_ds_load_b64 v[vgprValuB_X4_I0+2:vgprValuB_X4_I0+2+1], v[vgprLocalReadAddrB] offset:128 // L -> Reg lro=0 swapByteOffset=0 ti=16 vIdx=1 rIdx=0 oIdx=0 buffer=4 iui=0
	;; [unrolled: 1-line block ×7, first 2 shown]


/* local read inc a */

s_mov_b32 s31, 0x20                                // inc
_v_add_co_u32 v[vgprLocalReadAddrA], vcc, s31, v[vgprLocalReadAddrA] // lrA += 32 (LSU*bpe)


/* local read inc b */

s_mov_b32 s31, 0xe00                               // inc
_v_add_co_u32 v[vgprLocalReadAddrB], vcc, s31, v[vgprLocalReadAddrB] // lrB += 3584 (LSU*(MT+PAD)*bpe)

s_waitcnt lgkmcnt(0)                               // lgkmcnt=0 vmcnt=-14wait for local read



/* tail loop mfma iter 4: numReadsIterCoalescedA=1, numReadsIterCoalescedB=1 */
v_and_b32 v211, 63, v[vgprSerial]                  // v211 = v[vgprSerial] % 64
v_lshrrev_b32 v211, 4, v211                        // v211 = v211 / 16
                                                   // v211 = v211 * 1 (multiplier is 1, do nothing)
v_cmp_ge_i32 s[32:33], v211, s[sgprLoopCounterL]   // check K index >= Size L
v_cndmask_b32 v[vgprValuA_X4_I0+0+0+0+0], v[vgprValuA_X4_I0+0+0+0+0], 0x0, s[32:33] // set 0 if K_idx >= sizeL
v_cndmask_b32 v[vgprValuA_X4_I0+2+0+0+0], v[vgprValuA_X4_I0+2+0+0+0], 0x0, s[32:33] // set 0 if K_idx >= sizeL
v_cndmask_b32 v[vgprValuA_X4_I0+0+0+0+1], v[vgprValuA_X4_I0+0+0+0+1], 0x0, s[32:33] // set 0 if K_idx >= sizeL
v_cndmask_b32 v[vgprValuA_X4_I0+2+0+0+1], v[vgprValuA_X4_I0+2+0+0+1], 0x0, s[32:33] // set 0 if K_idx >= sizeL
s_nop 1
v_mfma_f64_16x16x4_f64 a[0+0:7+0], v[vgprValuB_X4_I0+0+0+0:vgprValuB_X4_I0+0+0+0+1], v[vgprValuA_X4_I0+0+0+0:vgprValuA_X4_I0+0+0+0+1], a[0:7]
v_mfma_f64_16x16x4_f64 a[8+0:15+0], v[vgprValuB_X4_I0+0+0+0:vgprValuB_X4_I0+0+0+0+1], v[vgprValuA_X4_I0+2+0+0:vgprValuA_X4_I0+2+0+0+1], a[8:15]
	;; [unrolled: 1-line block ×14, first 2 shown]


/* closeLoop loopL finalLoop=0 tailLoop=1 */
s_sub_i32 s[sgprLoopCounterL], s[sgprLoopCounterL], 0x4 // dec counterL (tailLoop)
s_add_u32 s[sgprOrigLoopCounter], s[sgprOrigLoopCounter], 0x4 // inc counterL
s_cmp_le_i32 s[sgprLoopCounterL], 0x0              // counterL<=0
s_cbranch_scc1 TailLoopEndL_7                      // exit LoopL


/* tail loop unroll iter 5 */


/* local read a */

_ds_load_b64 v[vgprValuA_X5_I0+0:vgprValuA_X5_I0+0+1], v[vgprLocalReadAddrA] offset:0 // L -> Reg lro=0 swapByteOffset=0 ti=128 vIdx=0 rIdx=0 oIdx=0 buffer=5 iui=0
_ds_load_b64 v[vgprValuA_X5_I0+2:vgprValuA_X5_I0+2+1], v[vgprLocalReadAddrA] offset:256 // L -> Reg lro=0 swapByteOffset=0 ti=128 vIdx=0 rIdx=0 oIdx=0 buffer=5 iui=0


/* local read b */

_ds_load_b64 v[vgprValuB_X5_I0+0:vgprValuB_X5_I0+0+1], v[vgprLocalReadAddrB] offset:0 // L -> Reg lro=0 swapByteOffset=0 ti=16 vIdx=0 rIdx=0 oIdx=0 buffer=5 iui=0
_ds_load_b64 v[vgprValuB_X5_I0+2:vgprValuB_X5_I0+2+1], v[vgprLocalReadAddrB] offset:128 // L -> Reg lro=0 swapByteOffset=0 ti=16 vIdx=1 rIdx=0 oIdx=0 buffer=5 iui=0
	;; [unrolled: 1-line block ×7, first 2 shown]


/* local read inc a */

s_mov_b32 s31, 0x20                                // inc
_v_add_co_u32 v[vgprLocalReadAddrA], vcc, s31, v[vgprLocalReadAddrA] // lrA += 32 (LSU*bpe)


/* local read inc b */

s_mov_b32 s31, 0xe00                               // inc
_v_add_co_u32 v[vgprLocalReadAddrB], vcc, s31, v[vgprLocalReadAddrB] // lrB += 3584 (LSU*(MT+PAD)*bpe)

s_waitcnt lgkmcnt(0)                               // lgkmcnt=0 vmcnt=-14wait for local read


	;; [unrolled: 1-line block ×3, first 2 shown]
/* tail loop mfma iter 5: numReadsIterCoalescedA=1, numReadsIterCoalescedB=1 */
v_and_b32 v211, 63, v[vgprSerial]                  // v211 = v[vgprSerial] % 64
v_lshrrev_b32 v211, 4, v211                        // v211 = v211 / 16
                                                   // v211 = v211 * 1 (multiplier is 1, do nothing)
v_cmp_ge_i32 s[32:33], v211, s[sgprLoopCounterL]   // check K index >= Size L
v_cndmask_b32 v[vgprValuA_X5_I0+0+0+0+0], v[vgprValuA_X5_I0+0+0+0+0], 0x0, s[32:33] // set 0 if K_idx >= sizeL
v_cndmask_b32 v[vgprValuA_X5_I0+2+0+0+0], v[vgprValuA_X5_I0+2+0+0+0], 0x0, s[32:33] // set 0 if K_idx >= sizeL
	;; [unrolled: 1-line block ×4, first 2 shown]
s_nop 1
v_mfma_f64_16x16x4_f64 a[0+0:7+0], v[vgprValuB_X5_I0+0+0+0:vgprValuB_X5_I0+0+0+0+1], v[vgprValuA_X5_I0+0+0+0:vgprValuA_X5_I0+0+0+0+1], a[0:7]
v_mfma_f64_16x16x4_f64 a[8+0:15+0], v[vgprValuB_X5_I0+0+0+0:vgprValuB_X5_I0+0+0+0+1], v[vgprValuA_X5_I0+2+0+0:vgprValuA_X5_I0+2+0+0+1], a[8:15]
v_mfma_f64_16x16x4_f64 a[24+0:31+0], v[vgprValuB_X5_I0+2+0+0:vgprValuB_X5_I0+2+0+0+1], v[vgprValuA_X5_I0+2+0+0:vgprValuA_X5_I0+2+0+0+1], a[24:31]
v_mfma_f64_16x16x4_f64 a[16+0:23+0], v[vgprValuB_X5_I0+2+0+0:vgprValuB_X5_I0+2+0+0+1], v[vgprValuA_X5_I0+0+0+0:vgprValuA_X5_I0+0+0+0+1], a[16:23]
v_mfma_f64_16x16x4_f64 a[32+0:39+0], v[vgprValuB_X5_I0+4+0+0:vgprValuB_X5_I0+4+0+0+1], v[vgprValuA_X5_I0+0+0+0:vgprValuA_X5_I0+0+0+0+1], a[32:39]
v_mfma_f64_16x16x4_f64 a[40+0:47+0], v[vgprValuB_X5_I0+4+0+0:vgprValuB_X5_I0+4+0+0+1], v[vgprValuA_X5_I0+2+0+0:vgprValuA_X5_I0+2+0+0+1], a[40:47]
v_mfma_f64_16x16x4_f64 a[56+0:63+0], v[vgprValuB_X5_I0+6+0+0:vgprValuB_X5_I0+6+0+0+1], v[vgprValuA_X5_I0+2+0+0:vgprValuA_X5_I0+2+0+0+1], a[56:63]
v_mfma_f64_16x16x4_f64 a[48+0:55+0], v[vgprValuB_X5_I0+6+0+0:vgprValuB_X5_I0+6+0+0+1], v[vgprValuA_X5_I0+0+0+0:vgprValuA_X5_I0+0+0+0+1], a[48:55]
v_mfma_f64_16x16x4_f64 a[64+0:71+0], v[vgprValuB_X5_I0+8+0+0:vgprValuB_X5_I0+8+0+0+1], v[vgprValuA_X5_I0+0+0+0:vgprValuA_X5_I0+0+0+0+1], a[64:71]
v_mfma_f64_16x16x4_f64 a[72+0:79+0], v[vgprValuB_X5_I0+8+0+0:vgprValuB_X5_I0+8+0+0+1], v[vgprValuA_X5_I0+2+0+0:vgprValuA_X5_I0+2+0+0+1], a[72:79]
v_mfma_f64_16x16x4_f64 a[88+0:95+0], v[vgprValuB_X5_I0+10+0+0:vgprValuB_X5_I0+10+0+0+1], v[vgprValuA_X5_I0+2+0+0:vgprValuA_X5_I0+2+0+0+1], a[88:95]
v_mfma_f64_16x16x4_f64 a[80+0:87+0], v[vgprValuB_X5_I0+10+0+0:vgprValuB_X5_I0+10+0+0+1], v[vgprValuA_X5_I0+0+0+0:vgprValuA_X5_I0+0+0+0+1], a[80:87]
v_mfma_f64_16x16x4_f64 a[96+0:103+0], v[vgprValuB_X5_I0+12+0+0:vgprValuB_X5_I0+12+0+0+1], v[vgprValuA_X5_I0+0+0+0:vgprValuA_X5_I0+0+0+0+1], a[96:103]
v_mfma_f64_16x16x4_f64 a[104+0:111+0], v[vgprValuB_X5_I0+12+0+0:vgprValuB_X5_I0+12+0+0+1], v[vgprValuA_X5_I0+2+0+0:vgprValuA_X5_I0+2+0+0+1], a[104:111]


/* closeLoop loopL finalLoop=0 tailLoop=1 */
s_sub_i32 s[sgprLoopCounterL], s[sgprLoopCounterL], 0x4 // dec counterL (tailLoop)
s_add_u32 s[sgprOrigLoopCounter], s[sgprOrigLoopCounter], 0x4 // inc counterL
s_cmp_le_i32 s[sgprLoopCounterL], 0x0              // counterL<=0
s_cbranch_scc1 TailLoopEndL_7                      // exit LoopL


/* tail loop unroll iter 6 */


/* local read a */

_ds_load_b64 v[vgprValuA_X6_I0+0:vgprValuA_X6_I0+0+1], v[vgprLocalReadAddrA] offset:0 // L -> Reg lro=0 swapByteOffset=0 ti=128 vIdx=0 rIdx=0 oIdx=0 buffer=6 iui=0
_ds_load_b64 v[vgprValuA_X6_I0+2:vgprValuA_X6_I0+2+1], v[vgprLocalReadAddrA] offset:256 // L -> Reg lro=0 swapByteOffset=0 ti=128 vIdx=0 rIdx=0 oIdx=0 buffer=6 iui=0


/* local read b */

_ds_load_b64 v[vgprValuB_X6_I0+0:vgprValuB_X6_I0+0+1], v[vgprLocalReadAddrB] offset:0 // L -> Reg lro=0 swapByteOffset=0 ti=16 vIdx=0 rIdx=0 oIdx=0 buffer=6 iui=0
_ds_load_b64 v[vgprValuB_X6_I0+2:vgprValuB_X6_I0+2+1], v[vgprLocalReadAddrB] offset:128 // L -> Reg lro=0 swapByteOffset=0 ti=16 vIdx=1 rIdx=0 oIdx=0 buffer=6 iui=0
	;; [unrolled: 1-line block ×7, first 2 shown]


/* local read inc a */

s_mov_b32 s31, 0x20                                // inc
_v_add_co_u32 v[vgprLocalReadAddrA], vcc, s31, v[vgprLocalReadAddrA] // lrA += 32 (LSU*bpe)


/* local read inc b */

s_mov_b32 s31, 0xe00                               // inc
_v_add_co_u32 v[vgprLocalReadAddrB], vcc, s31, v[vgprLocalReadAddrB] // lrB += 3584 (LSU*(MT+PAD)*bpe)

s_waitcnt lgkmcnt(0)                               // lgkmcnt=0 vmcnt=-14wait for local read


	;; [unrolled: 1-line block ×3, first 2 shown]
/* tail loop mfma iter 6: numReadsIterCoalescedA=1, numReadsIterCoalescedB=1 */
v_and_b32 v211, 63, v[vgprSerial]                  // v211 = v[vgprSerial] % 64
v_lshrrev_b32 v211, 4, v211                        // v211 = v211 / 16
                                                   // v211 = v211 * 1 (multiplier is 1, do nothing)
v_cmp_ge_i32 s[32:33], v211, s[sgprLoopCounterL]   // check K index >= Size L
v_cndmask_b32 v[vgprValuA_X6_I0+0+0+0+0], v[vgprValuA_X6_I0+0+0+0+0], 0x0, s[32:33] // set 0 if K_idx >= sizeL
v_cndmask_b32 v[vgprValuA_X6_I0+2+0+0+0], v[vgprValuA_X6_I0+2+0+0+0], 0x0, s[32:33] // set 0 if K_idx >= sizeL
	;; [unrolled: 1-line block ×4, first 2 shown]
s_nop 1
v_mfma_f64_16x16x4_f64 a[0+0:7+0], v[vgprValuB_X6_I0+0+0+0:vgprValuB_X6_I0+0+0+0+1], v[vgprValuA_X6_I0+0+0+0:vgprValuA_X6_I0+0+0+0+1], a[0:7]
v_mfma_f64_16x16x4_f64 a[8+0:15+0], v[vgprValuB_X6_I0+0+0+0:vgprValuB_X6_I0+0+0+0+1], v[vgprValuA_X6_I0+2+0+0:vgprValuA_X6_I0+2+0+0+1], a[8:15]
	;; [unrolled: 1-line block ×14, first 2 shown]


/* closeLoop loopL finalLoop=0 tailLoop=1 */
s_sub_i32 s[sgprLoopCounterL], s[sgprLoopCounterL], 0x4 // dec counterL (tailLoop)
s_add_u32 s[sgprOrigLoopCounter], s[sgprOrigLoopCounter], 0x4 // inc counterL
s_cmp_le_i32 s[sgprLoopCounterL], 0x0              // counterL<=0
s_cbranch_scc1 TailLoopEndL_7                      // exit LoopL


/* tail loop unroll iter 7 */


/* local read a */

_ds_load_b64 v[vgprValuA_X7_I0+0:vgprValuA_X7_I0+0+1], v[vgprLocalReadAddrA] offset:0 // L -> Reg lro=0 swapByteOffset=0 ti=128 vIdx=0 rIdx=0 oIdx=0 buffer=7 iui=0
_ds_load_b64 v[vgprValuA_X7_I0+2:vgprValuA_X7_I0+2+1], v[vgprLocalReadAddrA] offset:256 // L -> Reg lro=0 swapByteOffset=0 ti=128 vIdx=0 rIdx=0 oIdx=0 buffer=7 iui=0


/* local read b */

_ds_load_b64 v[vgprValuB_X7_I0+0:vgprValuB_X7_I0+0+1], v[vgprLocalReadAddrB] offset:0 // L -> Reg lro=0 swapByteOffset=0 ti=16 vIdx=0 rIdx=0 oIdx=0 buffer=7 iui=0
_ds_load_b64 v[vgprValuB_X7_I0+2:vgprValuB_X7_I0+2+1], v[vgprLocalReadAddrB] offset:128 // L -> Reg lro=0 swapByteOffset=0 ti=16 vIdx=1 rIdx=0 oIdx=0 buffer=7 iui=0
	;; [unrolled: 1-line block ×7, first 2 shown]


/* local read inc a */

s_mov_b32 s31, 0x20                                // inc
_v_add_co_u32 v[vgprLocalReadAddrA], vcc, s31, v[vgprLocalReadAddrA] // lrA += 32 (LSU*bpe)


/* local read inc b */

s_mov_b32 s31, 0xe00                               // inc
_v_add_co_u32 v[vgprLocalReadAddrB], vcc, s31, v[vgprLocalReadAddrB] // lrB += 3584 (LSU*(MT+PAD)*bpe)

s_waitcnt lgkmcnt(0)                               // lgkmcnt=0 vmcnt=-14wait for local read


	;; [unrolled: 1-line block ×3, first 2 shown]
/* tail loop mfma iter 7: numReadsIterCoalescedA=1, numReadsIterCoalescedB=1 */
v_and_b32 v211, 63, v[vgprSerial]                  // v211 = v[vgprSerial] % 64
v_lshrrev_b32 v211, 4, v211                        // v211 = v211 / 16
                                                   // v211 = v211 * 1 (multiplier is 1, do nothing)
v_cmp_ge_i32 s[32:33], v211, s[sgprLoopCounterL]   // check K index >= Size L
v_cndmask_b32 v[vgprValuA_X7_I0+0+0+0+0], v[vgprValuA_X7_I0+0+0+0+0], 0x0, s[32:33] // set 0 if K_idx >= sizeL
v_cndmask_b32 v[vgprValuA_X7_I0+2+0+0+0], v[vgprValuA_X7_I0+2+0+0+0], 0x0, s[32:33] // set 0 if K_idx >= sizeL
	;; [unrolled: 1-line block ×4, first 2 shown]
s_nop 1
v_mfma_f64_16x16x4_f64 a[0+0:7+0], v[vgprValuB_X7_I0+0+0+0:vgprValuB_X7_I0+0+0+0+1], v[vgprValuA_X7_I0+0+0+0:vgprValuA_X7_I0+0+0+0+1], a[0:7]
v_mfma_f64_16x16x4_f64 a[8+0:15+0], v[vgprValuB_X7_I0+0+0+0:vgprValuB_X7_I0+0+0+0+1], v[vgprValuA_X7_I0+2+0+0:vgprValuA_X7_I0+2+0+0+1], a[8:15]
	;; [unrolled: 1-line block ×14, first 2 shown]


/* closeLoop loopL finalLoop=1 tailLoop=1 */
s_sub_i32 s[sgprLoopCounterL], s[sgprLoopCounterL], 0x4 // dec counterL (tailLoop)
s_add_u32 s[sgprOrigLoopCounter], s[sgprOrigLoopCounter], 0x4 // inc counterL
s_cmp_le_i32 s[sgprLoopCounterL], 0x0              // counterL<=0
s_cbranch_scc0 TailLoopBeginL_6                    // restart LoopL
TailLoopEndL_7:

SkipTailLoopL_8:

Summation_End_30:
/* endSummation: add vgpr [0...208) to pool */
.set ScalarGlobalReadOffsetA, UNDEF
.set ScalarGlobalReadOffsetB, UNDEF

/* Mapping of Acc register -> C Vgpr register */



/* not-LocalSplitU: global write indices */

/* computeStoreVgprs */
v_lshrrev_b32 v4, 6, v[vgprSerial]                 // v4 = v[vgprSerial] / 64
v_and_b32 v1, 63, v[vgprSerial]                    // v1 = v[vgprSerial] % 64
v_lshrrev_b32 v1, 4, v1                            // v1 = v1 / 16
                                                   // thread0 * continuous_output (multiplier is 1, do nothing)
v_lshrrev_b32 v5, 2, v4                            // v5 = v4 / 4
v_mul_lo_u32 v5, 0x10, v5                          // wave coordination offset 1
_v_add_lshl_u32 v1, v5, v1, 0                      // coordination 1 = vwb *(wave_id1 + tid1)
v_mul_lo_u32 v2, v1, s[sgprStrideC1J]              //  offset 1
v_mul_lo_u32 v3, v1, s[sgprStrideD1J]              //  offset 1
v_and_b32 v5, 3, v4                                // v5 = v4 % 4
v_mul_lo_u32 v5, 0x10, v5                          // wave coordination offset 0
v_and_b32 v0, 15, v[vgprSerial]                    // v0 = v[vgprSerial] % 16
_v_add_lshl_u32 v0, v5, v0, 1                      // coordination 0 = vwa *(wave_id0 + tid0)
s_mul_i32 s31, 128, s[sgprWorkGroup0]              // wgp0 * MT0
_v_add_u32 v0, s31, v0                             // coord 0 = (tid0/MI_m)*4 + waveG0*MIB_m + MT0*SG0
s_mul_i32 s31, 112, s[sgprWorkGroup1]              // wgp1 * MT1
_v_add_u32 v1, s31, v1                             // coord 1 = (tid0%MI_m) + waveG1*MIB_n + MT1*SG1


/* not-LocalSplitU: global write */

s_mov_b32 s31, s[sgprBeta+0]                       // tmp = Beta[0]
s_or_b32 s31, s[sgprBeta+1], s31                   // tmp |= Beta[1] 
s_cmpk_eq_u32 s31, 0x0                             // Beta == 0
s_cbranch_scc0 GW_Beta_45                          // Branch if Beta is not zero

s_and_b32 s32, 127, s[sgprSizeI]                   // s32 = s[sgprSizeI] % 128
s_add_u32 s33, -0x1, s[sgprNumWorkGroups0]         // 
s_cmp_ge_u32 s[sgprWorkGroup0], s33                // wg0 >= nwg0-1 ?
s_cselect_b32 s32, s32, 0                          // set rMT0
s_cmpk_gt_u32 s32, 0x0                             // rMT0 > 0
s_cbranch_scc1 GW_B0_E1_36                         // jump if edges required
s_mov_b32 s35, 0x0                                 // STATIC_DIV: divisior=112
s_mul_i32 s34, 0x492, s[sgprSizeJ]                 // tmp1 = dividend * magic hi
s_lshl_b64 s[34:35], s[34:35], 0x10                // left shift 16 bits
s_mul_i32 s33, s[sgprSizeJ], 0x4925                // tmp0 = dividend * magic lo
s_add_u32 s34, s33, s34                            // add lo
s_addc_u32 s35, s35, 0x0                           // add hi
s_lshr_b64 s[34:35], s[34:35], 0x21                // tmp1 = (dividend * magic) << shift
s_mov_b32 s33, s34                                 // quotient
s_mul_i32 s34, s33, 0x70                           // quotient*divisor
s_sub_u32 s32, s[sgprSizeJ], s34                   // rReg = dividend - quotient*divisor
s_add_u32 s33, -0x1, s[sgprNumWorkGroups1]         // 
s_cmp_ge_u32 s[sgprWorkGroup1], s33                // wg1 >= nwg1-1
s_cselect_b32 s32, s32, 0                          // set rMT1
s_cmpk_gt_u32 s32, 0x0                             // rMT1 > 0
s_cbranch_scc1 GW_B0_E1_36                         // jump if edges required
GW_B0_E0_33:

/* edge=0, allocate 2 sgpr. perBatchTmpS=2 perBatchMaskS=0 perElementMaskS=0 elementsPerBatch=4 */
/* optSingleColVgpr=1 optSharedColVgpr=0 optSGPRUsage=BufferLoad_Mask optSrdIncForRow=1 */

/******************************************/
/* Global Write Alpha Batch #0 (d1,d0,vc1,vc0) = */
/*    (0,0,0,0:vw2); (1,0,0,0:vw2); (2,0,0,0:vw2); (3,0,0,0:vw2) */
/******************************************/

/* calc coords, apply mask, and issue loads (if necessary) */
/* (d1,vc1,d0,vc0)=(0,0,0,0) */
/* (d1,vc1,d0,vc0)=(1,0,0,0) */
	;; [unrolled: 1-line block ×4, first 2 shown]
_v_add_lshl_u32 v6, v3, v0, 0x3                    // optSingleColVgpr scaleToBpe: sharedAddrVgpr <- cinRowPtr + coord0, scaled by BPE. BSHERE:coord0=0, coord0Vgpr=0
v_accvgpr_read_b32 v[vgprValuC+8], acc0 // copy acc to vreg[0]
v_accvgpr_read_b32 v[vgprValuC+9], acc1 // copy acc to vreg[1]
v_accvgpr_read_b32 v[vgprValuC+10], acc8 // copy acc to vreg[2]
v_accvgpr_read_b32 v[vgprValuC+11], acc9 // copy acc to vreg[3]
v_accvgpr_read_b32 v[vgprValuC+12], acc2 // copy acc to vreg[4]
v_accvgpr_read_b32 v[vgprValuC+13], acc3 // copy acc to vreg[5]
v_accvgpr_read_b32 v[vgprValuC+14], acc10 // copy acc to vreg[6]
v_accvgpr_read_b32 v[vgprValuC+15], acc11 // copy acc to vreg[7]
v_accvgpr_read_b32 v[vgprValuC+16], acc4 // copy acc to vreg[8]
v_accvgpr_read_b32 v[vgprValuC+17], acc5 // copy acc to vreg[9]
v_accvgpr_read_b32 v[vgprValuC+18], acc12 // copy acc to vreg[10]
v_accvgpr_read_b32 v[vgprValuC+19], acc13 // copy acc to vreg[11]
v_accvgpr_read_b32 v[vgprValuC+20], acc6 // copy acc to vreg[12]
v_accvgpr_read_b32 v[vgprValuC+21], acc7 // copy acc to vreg[13]
v_accvgpr_read_b32 v[vgprValuC+22], acc14 // copy acc to vreg[14]
v_accvgpr_read_b32 v[vgprValuC+23], acc15 // copy acc to vreg[15]
s_nop 1                                            // 2 wait states required before reading vgpr

/* rC *= alpha batchElements=[(0, 0, 0, 0), (1, 0, 0, 0), (2, 0, 0, 0), (3, 0, 0, 0)] */
v_mul_f64 v[vgprValuC+8:vgprValuC+8+1], s[sgprAlpha:sgprAlpha+1], v[vgprValuC+8:vgprValuC+8+1] // *= alpha
v_mul_f64 v[vgprValuC+10:vgprValuC+10+1], s[sgprAlpha:sgprAlpha+1], v[vgprValuC+10:vgprValuC+10+1] // *= alpha
v_mul_f64 v[vgprValuC+12:vgprValuC+12+1], s[sgprAlpha:sgprAlpha+1], v[vgprValuC+12:vgprValuC+12+1] // *= alpha
v_mul_f64 v[vgprValuC+14:vgprValuC+14+1], s[sgprAlpha:sgprAlpha+1], v[vgprValuC+14:vgprValuC+14+1] // *= alpha
v_mul_f64 v[vgprValuC+16:vgprValuC+16+1], s[sgprAlpha:sgprAlpha+1], v[vgprValuC+16:vgprValuC+16+1] // *= alpha
v_mul_f64 v[vgprValuC+18:vgprValuC+18+1], s[sgprAlpha:sgprAlpha+1], v[vgprValuC+18:vgprValuC+18+1] // *= alpha
v_mul_f64 v[vgprValuC+20:vgprValuC+20+1], s[sgprAlpha:sgprAlpha+1], v[vgprValuC+20:vgprValuC+20+1] // *= alpha
v_mul_f64 v[vgprValuC+22:vgprValuC+22+1], s[sgprAlpha:sgprAlpha+1], v[vgprValuC+22:vgprValuC+22+1] // *= alpha

/* apply mask, calc new C and issue writes */
_buffer_store_b128 v[8:11], v6, s[sgprSrdD:sgprSrdD+3], 0, offen, offset:0,  sc0 sc1 // store D
s_mul_i32 s32, s[sgprStrideD1J], 32                // scale StrideD *= numRows(4) * bpe
s_add_u32  s[sgprSrdD+0], s[sgprSrdD+0], s32       // incToNextRow: gra SRD += inc(lower)
s_addc_u32  s[sgprSrdD+1], s[sgprSrdD+1], 0        // incToNextRow: gra SRD += inc(upper)
_buffer_store_b128 v[12:15], v6, s[sgprSrdD:sgprSrdD+3], 0, offen, offset:0,  sc0 sc1 // store D
s_mul_i32 s32, s[sgprStrideD1J], 32                // scale StrideD *= numRows(4) * bpe
s_add_u32  s[sgprSrdD+0], s[sgprSrdD+0], s32       // incToNextRow: gra SRD += inc(lower)
s_addc_u32  s[sgprSrdD+1], s[sgprSrdD+1], 0        // incToNextRow: gra SRD += inc(upper)
	;; [unrolled: 4-line block ×3, first 2 shown]
_buffer_store_b128 v[20:23], v6, s[sgprSrdD:sgprSrdD+3], 0, offen, offset:0,  sc0 sc1 // store D
s_nop 0                                            // 1 wait state required when next inst writes vgprs held by previous dwordx4 store inst
/* optSingleColVgpr=1 optSharedColVgpr=0 optSGPRUsage=BufferLoad_Mask optSrdIncForRow=1 */

/******************************************/
/* Global Write Alpha Batch #1 (d1,d0,vc1,vc0) = */
/*    (4,0,0,0:vw2); (5,0,0,0:vw2); (6,0,0,0:vw2); (7,0,0,0:vw2) */
/******************************************/

/* calc coords, apply mask, and issue loads (if necessary) */
/* (d1,vc1,d0,vc0)=(4,0,0,0) */
/* (d1,vc1,d0,vc0)=(5,0,0,0) */
	;; [unrolled: 1-line block ×4, first 2 shown]
v_accvgpr_read_b32 v[vgprValuC+8], acc16 // copy acc to vreg[16]
v_accvgpr_read_b32 v[vgprValuC+9], acc17 // copy acc to vreg[17]
v_accvgpr_read_b32 v[vgprValuC+10], acc24 // copy acc to vreg[18]
v_accvgpr_read_b32 v[vgprValuC+11], acc25 // copy acc to vreg[19]
v_accvgpr_read_b32 v[vgprValuC+12], acc18 // copy acc to vreg[20]
v_accvgpr_read_b32 v[vgprValuC+13], acc19 // copy acc to vreg[21]
v_accvgpr_read_b32 v[vgprValuC+14], acc26 // copy acc to vreg[22]
v_accvgpr_read_b32 v[vgprValuC+15], acc27 // copy acc to vreg[23]
v_accvgpr_read_b32 v[vgprValuC+16], acc20 // copy acc to vreg[24]
v_accvgpr_read_b32 v[vgprValuC+17], acc21 // copy acc to vreg[25]
v_accvgpr_read_b32 v[vgprValuC+18], acc28 // copy acc to vreg[26]
v_accvgpr_read_b32 v[vgprValuC+19], acc29 // copy acc to vreg[27]
v_accvgpr_read_b32 v[vgprValuC+20], acc22 // copy acc to vreg[28]
v_accvgpr_read_b32 v[vgprValuC+21], acc23 // copy acc to vreg[29]
v_accvgpr_read_b32 v[vgprValuC+22], acc30 // copy acc to vreg[30]
v_accvgpr_read_b32 v[vgprValuC+23], acc31 // copy acc to vreg[31]
s_nop 1                                            // 2 wait states required before reading vgpr

/* rC *= alpha batchElements=[(4, 0, 0, 0), (5, 0, 0, 0), (6, 0, 0, 0), (7, 0, 0, 0)] */
v_mul_f64 v[vgprValuC+8:vgprValuC+8+1], s[sgprAlpha:sgprAlpha+1], v[vgprValuC+8:vgprValuC+8+1] // *= alpha
v_mul_f64 v[vgprValuC+10:vgprValuC+10+1], s[sgprAlpha:sgprAlpha+1], v[vgprValuC+10:vgprValuC+10+1] // *= alpha
	;; [unrolled: 1-line block ×8, first 2 shown]

/* apply mask, calc new C and issue writes */
s_mul_i32 s32, s[sgprStrideD1J], 32                // scale StrideD *= numRows(4) * bpe
s_add_u32  s[sgprSrdD+0], s[sgprSrdD+0], s32       // incToNextRow: gra SRD += inc(lower)
s_addc_u32  s[sgprSrdD+1], s[sgprSrdD+1], 0        // incToNextRow: gra SRD += inc(upper)
_buffer_store_b128 v[8:11], v6, s[sgprSrdD:sgprSrdD+3], 0, offen, offset:0,  sc0 sc1 // store D
s_mul_i32 s32, s[sgprStrideD1J], 32                // scale StrideD *= numRows(4) * bpe
s_add_u32  s[sgprSrdD+0], s[sgprSrdD+0], s32       // incToNextRow: gra SRD += inc(lower)
s_addc_u32  s[sgprSrdD+1], s[sgprSrdD+1], 0        // incToNextRow: gra SRD += inc(upper)
_buffer_store_b128 v[12:15], v6, s[sgprSrdD:sgprSrdD+3], 0, offen, offset:0,  sc0 sc1 // store D
	;; [unrolled: 4-line block ×4, first 2 shown]
s_nop 0                                            // 1 wait state required when next inst writes vgprs held by previous dwordx4 store inst
/* optSingleColVgpr=1 optSharedColVgpr=0 optSGPRUsage=BufferLoad_Mask optSrdIncForRow=1 */

/******************************************/
/* Global Write Alpha Batch #2 (d1,d0,vc1,vc0) = */
/*    (8,0,0,0:vw2); (9,0,0,0:vw2); (10,0,0,0:vw2); (11,0,0,0:vw2) */
/******************************************/

/* calc coords, apply mask, and issue loads (if necessary) */
/* (d1,vc1,d0,vc0)=(8,0,0,0) */
/* (d1,vc1,d0,vc0)=(9,0,0,0) */
	;; [unrolled: 1-line block ×4, first 2 shown]
v_accvgpr_read_b32 v[vgprValuC+8], acc32 // copy acc to vreg[32]
v_accvgpr_read_b32 v[vgprValuC+9], acc33 // copy acc to vreg[33]
v_accvgpr_read_b32 v[vgprValuC+10], acc40 // copy acc to vreg[34]
v_accvgpr_read_b32 v[vgprValuC+11], acc41 // copy acc to vreg[35]
v_accvgpr_read_b32 v[vgprValuC+12], acc34 // copy acc to vreg[36]
v_accvgpr_read_b32 v[vgprValuC+13], acc35 // copy acc to vreg[37]
v_accvgpr_read_b32 v[vgprValuC+14], acc42 // copy acc to vreg[38]
v_accvgpr_read_b32 v[vgprValuC+15], acc43 // copy acc to vreg[39]
v_accvgpr_read_b32 v[vgprValuC+16], acc36 // copy acc to vreg[40]
v_accvgpr_read_b32 v[vgprValuC+17], acc37 // copy acc to vreg[41]
v_accvgpr_read_b32 v[vgprValuC+18], acc44 // copy acc to vreg[42]
v_accvgpr_read_b32 v[vgprValuC+19], acc45 // copy acc to vreg[43]
v_accvgpr_read_b32 v[vgprValuC+20], acc38 // copy acc to vreg[44]
v_accvgpr_read_b32 v[vgprValuC+21], acc39 // copy acc to vreg[45]
v_accvgpr_read_b32 v[vgprValuC+22], acc46 // copy acc to vreg[46]
v_accvgpr_read_b32 v[vgprValuC+23], acc47 // copy acc to vreg[47]
s_nop 1                                            // 2 wait states required before reading vgpr

/* rC *= alpha batchElements=[(8, 0, 0, 0), (9, 0, 0, 0), (10, 0, 0, 0), (11, 0, 0, 0)] */
v_mul_f64 v[vgprValuC+8:vgprValuC+8+1], s[sgprAlpha:sgprAlpha+1], v[vgprValuC+8:vgprValuC+8+1] // *= alpha
v_mul_f64 v[vgprValuC+10:vgprValuC+10+1], s[sgprAlpha:sgprAlpha+1], v[vgprValuC+10:vgprValuC+10+1] // *= alpha
	;; [unrolled: 1-line block ×8, first 2 shown]

/* apply mask, calc new C and issue writes */
s_mul_i32 s32, s[sgprStrideD1J], 32                // scale StrideD *= numRows(4) * bpe
s_add_u32  s[sgprSrdD+0], s[sgprSrdD+0], s32       // incToNextRow: gra SRD += inc(lower)
s_addc_u32  s[sgprSrdD+1], s[sgprSrdD+1], 0        // incToNextRow: gra SRD += inc(upper)
_buffer_store_b128 v[8:11], v6, s[sgprSrdD:sgprSrdD+3], 0, offen, offset:0,  sc0 sc1 // store D
s_mul_i32 s32, s[sgprStrideD1J], 32                // scale StrideD *= numRows(4) * bpe
s_add_u32  s[sgprSrdD+0], s[sgprSrdD+0], s32       // incToNextRow: gra SRD += inc(lower)
s_addc_u32  s[sgprSrdD+1], s[sgprSrdD+1], 0        // incToNextRow: gra SRD += inc(upper)
_buffer_store_b128 v[12:15], v6, s[sgprSrdD:sgprSrdD+3], 0, offen, offset:0,  sc0 sc1 // store D
	;; [unrolled: 4-line block ×4, first 2 shown]
s_nop 0                                            // 1 wait state required when next inst writes vgprs held by previous dwordx4 store inst
/* optSingleColVgpr=1 optSharedColVgpr=0 optSGPRUsage=BufferLoad_Mask optSrdIncForRow=1 */

/******************************************/
/* Global Write Alpha Batch #3 (d1,d0,vc1,vc0) = */
/*    (12,0,0,0:vw2); (13,0,0,0:vw2); (14,0,0,0:vw2); (15,0,0,0:vw2) */
/******************************************/

/* calc coords, apply mask, and issue loads (if necessary) */
/* (d1,vc1,d0,vc0)=(12,0,0,0) */
/* (d1,vc1,d0,vc0)=(13,0,0,0) */
	;; [unrolled: 1-line block ×4, first 2 shown]
v_accvgpr_read_b32 v[vgprValuC+8], acc48 // copy acc to vreg[48]
v_accvgpr_read_b32 v[vgprValuC+9], acc49 // copy acc to vreg[49]
v_accvgpr_read_b32 v[vgprValuC+10], acc56 // copy acc to vreg[50]
v_accvgpr_read_b32 v[vgprValuC+11], acc57 // copy acc to vreg[51]
v_accvgpr_read_b32 v[vgprValuC+12], acc50 // copy acc to vreg[52]
v_accvgpr_read_b32 v[vgprValuC+13], acc51 // copy acc to vreg[53]
v_accvgpr_read_b32 v[vgprValuC+14], acc58 // copy acc to vreg[54]
v_accvgpr_read_b32 v[vgprValuC+15], acc59 // copy acc to vreg[55]
v_accvgpr_read_b32 v[vgprValuC+16], acc52 // copy acc to vreg[56]
v_accvgpr_read_b32 v[vgprValuC+17], acc53 // copy acc to vreg[57]
v_accvgpr_read_b32 v[vgprValuC+18], acc60 // copy acc to vreg[58]
v_accvgpr_read_b32 v[vgprValuC+19], acc61 // copy acc to vreg[59]
v_accvgpr_read_b32 v[vgprValuC+20], acc54 // copy acc to vreg[60]
v_accvgpr_read_b32 v[vgprValuC+21], acc55 // copy acc to vreg[61]
v_accvgpr_read_b32 v[vgprValuC+22], acc62 // copy acc to vreg[62]
v_accvgpr_read_b32 v[vgprValuC+23], acc63 // copy acc to vreg[63]
s_nop 1                                            // 2 wait states required before reading vgpr

/* rC *= alpha batchElements=[(12, 0, 0, 0), (13, 0, 0, 0), (14, 0, 0, 0), (15, 0, 0, 0)] */
v_mul_f64 v[vgprValuC+8:vgprValuC+8+1], s[sgprAlpha:sgprAlpha+1], v[vgprValuC+8:vgprValuC+8+1] // *= alpha
v_mul_f64 v[vgprValuC+10:vgprValuC+10+1], s[sgprAlpha:sgprAlpha+1], v[vgprValuC+10:vgprValuC+10+1] // *= alpha
	;; [unrolled: 1-line block ×8, first 2 shown]

/* apply mask, calc new C and issue writes */
s_mul_i32 s32, s[sgprStrideD1J], 32                // scale StrideD *= numRows(4) * bpe
s_add_u32  s[sgprSrdD+0], s[sgprSrdD+0], s32       // incToNextRow: gra SRD += inc(lower)
s_addc_u32  s[sgprSrdD+1], s[sgprSrdD+1], 0        // incToNextRow: gra SRD += inc(upper)
_buffer_store_b128 v[8:11], v6, s[sgprSrdD:sgprSrdD+3], 0, offen, offset:0,  sc0 sc1 // store D
s_mul_i32 s32, s[sgprStrideD1J], 32                // scale StrideD *= numRows(4) * bpe
s_add_u32  s[sgprSrdD+0], s[sgprSrdD+0], s32       // incToNextRow: gra SRD += inc(lower)
s_addc_u32  s[sgprSrdD+1], s[sgprSrdD+1], 0        // incToNextRow: gra SRD += inc(upper)
_buffer_store_b128 v[12:15], v6, s[sgprSrdD:sgprSrdD+3], 0, offen, offset:0,  sc0 sc1 // store D
	;; [unrolled: 4-line block ×4, first 2 shown]
s_nop 0                                            // 1 wait state required when next inst writes vgprs held by previous dwordx4 store inst
/* optSingleColVgpr=1 optSharedColVgpr=0 optSGPRUsage=BufferLoad_Mask optSrdIncForRow=1 */

/******************************************/
/* Global Write Alpha Batch #4 (d1,d0,vc1,vc0) = */
/*    (16,0,0,0:vw2); (17,0,0,0:vw2); (18,0,0,0:vw2); (19,0,0,0:vw2) */
/******************************************/

/* calc coords, apply mask, and issue loads (if necessary) */
/* (d1,vc1,d0,vc0)=(16,0,0,0) */
/* (d1,vc1,d0,vc0)=(17,0,0,0) */
	;; [unrolled: 1-line block ×4, first 2 shown]
v_accvgpr_read_b32 v[vgprValuC+8], acc64 // copy acc to vreg[64]
v_accvgpr_read_b32 v[vgprValuC+9], acc65 // copy acc to vreg[65]
v_accvgpr_read_b32 v[vgprValuC+10], acc72 // copy acc to vreg[66]
v_accvgpr_read_b32 v[vgprValuC+11], acc73 // copy acc to vreg[67]
v_accvgpr_read_b32 v[vgprValuC+12], acc66 // copy acc to vreg[68]
v_accvgpr_read_b32 v[vgprValuC+13], acc67 // copy acc to vreg[69]
v_accvgpr_read_b32 v[vgprValuC+14], acc74 // copy acc to vreg[70]
v_accvgpr_read_b32 v[vgprValuC+15], acc75 // copy acc to vreg[71]
v_accvgpr_read_b32 v[vgprValuC+16], acc68 // copy acc to vreg[72]
v_accvgpr_read_b32 v[vgprValuC+17], acc69 // copy acc to vreg[73]
v_accvgpr_read_b32 v[vgprValuC+18], acc76 // copy acc to vreg[74]
v_accvgpr_read_b32 v[vgprValuC+19], acc77 // copy acc to vreg[75]
v_accvgpr_read_b32 v[vgprValuC+20], acc70 // copy acc to vreg[76]
v_accvgpr_read_b32 v[vgprValuC+21], acc71 // copy acc to vreg[77]
v_accvgpr_read_b32 v[vgprValuC+22], acc78 // copy acc to vreg[78]
v_accvgpr_read_b32 v[vgprValuC+23], acc79 // copy acc to vreg[79]
s_nop 1                                            // 2 wait states required before reading vgpr

/* rC *= alpha batchElements=[(16, 0, 0, 0), (17, 0, 0, 0), (18, 0, 0, 0), (19, 0, 0, 0)] */
v_mul_f64 v[vgprValuC+8:vgprValuC+8+1], s[sgprAlpha:sgprAlpha+1], v[vgprValuC+8:vgprValuC+8+1] // *= alpha
v_mul_f64 v[vgprValuC+10:vgprValuC+10+1], s[sgprAlpha:sgprAlpha+1], v[vgprValuC+10:vgprValuC+10+1] // *= alpha
	;; [unrolled: 1-line block ×8, first 2 shown]

/* apply mask, calc new C and issue writes */
s_mul_i32 s32, s[sgprStrideD1J], 32                // scale StrideD *= numRows(4) * bpe
s_add_u32  s[sgprSrdD+0], s[sgprSrdD+0], s32       // incToNextRow: gra SRD += inc(lower)
s_addc_u32  s[sgprSrdD+1], s[sgprSrdD+1], 0        // incToNextRow: gra SRD += inc(upper)
_buffer_store_b128 v[8:11], v6, s[sgprSrdD:sgprSrdD+3], 0, offen, offset:0,  sc0 sc1 // store D
s_mul_i32 s32, s[sgprStrideD1J], 32                // scale StrideD *= numRows(4) * bpe
s_add_u32  s[sgprSrdD+0], s[sgprSrdD+0], s32       // incToNextRow: gra SRD += inc(lower)
s_addc_u32  s[sgprSrdD+1], s[sgprSrdD+1], 0        // incToNextRow: gra SRD += inc(upper)
_buffer_store_b128 v[12:15], v6, s[sgprSrdD:sgprSrdD+3], 0, offen, offset:0,  sc0 sc1 // store D
	;; [unrolled: 4-line block ×4, first 2 shown]
s_nop 0                                            // 1 wait state required when next inst writes vgprs held by previous dwordx4 store inst
/* optSingleColVgpr=1 optSharedColVgpr=0 optSGPRUsage=BufferLoad_Mask optSrdIncForRow=1 */

/******************************************/
/* Global Write Alpha Batch #5 (d1,d0,vc1,vc0) = */
/*    (20,0,0,0:vw2); (21,0,0,0:vw2); (22,0,0,0:vw2); (23,0,0,0:vw2) */
/******************************************/

/* calc coords, apply mask, and issue loads (if necessary) */
/* (d1,vc1,d0,vc0)=(20,0,0,0) */
/* (d1,vc1,d0,vc0)=(21,0,0,0) */
	;; [unrolled: 1-line block ×4, first 2 shown]
v_accvgpr_read_b32 v[vgprValuC+8], acc80 // copy acc to vreg[80]
v_accvgpr_read_b32 v[vgprValuC+9], acc81 // copy acc to vreg[81]
v_accvgpr_read_b32 v[vgprValuC+10], acc88 // copy acc to vreg[82]
v_accvgpr_read_b32 v[vgprValuC+11], acc89 // copy acc to vreg[83]
v_accvgpr_read_b32 v[vgprValuC+12], acc82 // copy acc to vreg[84]
v_accvgpr_read_b32 v[vgprValuC+13], acc83 // copy acc to vreg[85]
v_accvgpr_read_b32 v[vgprValuC+14], acc90 // copy acc to vreg[86]
v_accvgpr_read_b32 v[vgprValuC+15], acc91 // copy acc to vreg[87]
v_accvgpr_read_b32 v[vgprValuC+16], acc84 // copy acc to vreg[88]
v_accvgpr_read_b32 v[vgprValuC+17], acc85 // copy acc to vreg[89]
v_accvgpr_read_b32 v[vgprValuC+18], acc92 // copy acc to vreg[90]
v_accvgpr_read_b32 v[vgprValuC+19], acc93 // copy acc to vreg[91]
v_accvgpr_read_b32 v[vgprValuC+20], acc86 // copy acc to vreg[92]
v_accvgpr_read_b32 v[vgprValuC+21], acc87 // copy acc to vreg[93]
v_accvgpr_read_b32 v[vgprValuC+22], acc94 // copy acc to vreg[94]
v_accvgpr_read_b32 v[vgprValuC+23], acc95 // copy acc to vreg[95]
s_nop 1                                            // 2 wait states required before reading vgpr

/* rC *= alpha batchElements=[(20, 0, 0, 0), (21, 0, 0, 0), (22, 0, 0, 0), (23, 0, 0, 0)] */
v_mul_f64 v[vgprValuC+8:vgprValuC+8+1], s[sgprAlpha:sgprAlpha+1], v[vgprValuC+8:vgprValuC+8+1] // *= alpha
v_mul_f64 v[vgprValuC+10:vgprValuC+10+1], s[sgprAlpha:sgprAlpha+1], v[vgprValuC+10:vgprValuC+10+1] // *= alpha
	;; [unrolled: 1-line block ×8, first 2 shown]

/* apply mask, calc new C and issue writes */
s_mul_i32 s32, s[sgprStrideD1J], 32                // scale StrideD *= numRows(4) * bpe
s_add_u32  s[sgprSrdD+0], s[sgprSrdD+0], s32       // incToNextRow: gra SRD += inc(lower)
s_addc_u32  s[sgprSrdD+1], s[sgprSrdD+1], 0        // incToNextRow: gra SRD += inc(upper)
_buffer_store_b128 v[8:11], v6, s[sgprSrdD:sgprSrdD+3], 0, offen, offset:0,  sc0 sc1 // store D
s_mul_i32 s32, s[sgprStrideD1J], 32                // scale StrideD *= numRows(4) * bpe
s_add_u32  s[sgprSrdD+0], s[sgprSrdD+0], s32       // incToNextRow: gra SRD += inc(lower)
s_addc_u32  s[sgprSrdD+1], s[sgprSrdD+1], 0        // incToNextRow: gra SRD += inc(upper)
_buffer_store_b128 v[12:15], v6, s[sgprSrdD:sgprSrdD+3], 0, offen, offset:0,  sc0 sc1 // store D
	;; [unrolled: 4-line block ×4, first 2 shown]
s_nop 0                                            // 1 wait state required when next inst writes vgprs held by previous dwordx4 store inst
/* optSingleColVgpr=1 optSharedColVgpr=0 optSGPRUsage=BufferLoad_Mask optSrdIncForRow=1 */

/******************************************/
/* Global Write Alpha Batch #6 (d1,d0,vc1,vc0) = */
/*    (24,0,0,0:vw2); (25,0,0,0:vw2); (26,0,0,0:vw2); (27,0,0,0:vw2) */
/******************************************/

/* calc coords, apply mask, and issue loads (if necessary) */
/* (d1,vc1,d0,vc0)=(24,0,0,0) */
/* (d1,vc1,d0,vc0)=(25,0,0,0) */
	;; [unrolled: 1-line block ×4, first 2 shown]
v_accvgpr_read_b32 v[vgprValuC+8], acc96 // copy acc to vreg[96]
v_accvgpr_read_b32 v[vgprValuC+9], acc97 // copy acc to vreg[97]
v_accvgpr_read_b32 v[vgprValuC+10], acc104 // copy acc to vreg[98]
v_accvgpr_read_b32 v[vgprValuC+11], acc105 // copy acc to vreg[99]
v_accvgpr_read_b32 v[vgprValuC+12], acc98 // copy acc to vreg[100]
v_accvgpr_read_b32 v[vgprValuC+13], acc99 // copy acc to vreg[101]
v_accvgpr_read_b32 v[vgprValuC+14], acc106 // copy acc to vreg[102]
v_accvgpr_read_b32 v[vgprValuC+15], acc107 // copy acc to vreg[103]
v_accvgpr_read_b32 v[vgprValuC+16], acc100 // copy acc to vreg[104]
v_accvgpr_read_b32 v[vgprValuC+17], acc101 // copy acc to vreg[105]
v_accvgpr_read_b32 v[vgprValuC+18], acc108 // copy acc to vreg[106]
v_accvgpr_read_b32 v[vgprValuC+19], acc109 // copy acc to vreg[107]
v_accvgpr_read_b32 v[vgprValuC+20], acc102 // copy acc to vreg[108]
v_accvgpr_read_b32 v[vgprValuC+21], acc103 // copy acc to vreg[109]
v_accvgpr_read_b32 v[vgprValuC+22], acc110 // copy acc to vreg[110]
v_accvgpr_read_b32 v[vgprValuC+23], acc111 // copy acc to vreg[111]
s_nop 1                                            // 2 wait states required before reading vgpr

/* rC *= alpha batchElements=[(24, 0, 0, 0), (25, 0, 0, 0), (26, 0, 0, 0), (27, 0, 0, 0)] */
v_mul_f64 v[vgprValuC+8:vgprValuC+8+1], s[sgprAlpha:sgprAlpha+1], v[vgprValuC+8:vgprValuC+8+1] // *= alpha
v_mul_f64 v[vgprValuC+10:vgprValuC+10+1], s[sgprAlpha:sgprAlpha+1], v[vgprValuC+10:vgprValuC+10+1] // *= alpha
	;; [unrolled: 1-line block ×8, first 2 shown]

/* apply mask, calc new C and issue writes */
s_mul_i32 s32, s[sgprStrideD1J], 32                // scale StrideD *= numRows(4) * bpe
s_add_u32  s[sgprSrdD+0], s[sgprSrdD+0], s32       // incToNextRow: gra SRD += inc(lower)
s_addc_u32  s[sgprSrdD+1], s[sgprSrdD+1], 0        // incToNextRow: gra SRD += inc(upper)
_buffer_store_b128 v[8:11], v6, s[sgprSrdD:sgprSrdD+3], 0, offen, offset:0,  sc0 sc1 // store D
s_mul_i32 s32, s[sgprStrideD1J], 32                // scale StrideD *= numRows(4) * bpe
s_add_u32  s[sgprSrdD+0], s[sgprSrdD+0], s32       // incToNextRow: gra SRD += inc(lower)
s_addc_u32  s[sgprSrdD+1], s[sgprSrdD+1], 0        // incToNextRow: gra SRD += inc(upper)
_buffer_store_b128 v[12:15], v6, s[sgprSrdD:sgprSrdD+3], 0, offen, offset:0,  sc0 sc1 // store D
s_mul_i32 s32, s[sgprStrideD1J], 32                // scale StrideD *= numRows(4) * bpe
s_add_u32  s[sgprSrdD+0], s[sgprSrdD+0], s32       // incToNextRow: gra SRD += inc(lower)
s_addc_u32  s[sgprSrdD+1], s[sgprSrdD+1], 0        // incToNextRow: gra SRD += inc(upper)
_buffer_store_b128 v[16:19], v6, s[sgprSrdD:sgprSrdD+3], 0, offen, offset:0,  sc0 sc1 // store D
s_mul_i32 s32, s[sgprStrideD1J], 32                // scale StrideD *= numRows(4) * bpe
s_add_u32  s[sgprSrdD+0], s[sgprSrdD+0], s32       // incToNextRow: gra SRD += inc(lower)
s_addc_u32  s[sgprSrdD+1], s[sgprSrdD+1], 0        // incToNextRow: gra SRD += inc(upper)
_buffer_store_b128 v[20:23], v6, s[sgprSrdD:sgprSrdD+3], 0, offen, offset:0,  sc0 sc1 // store D
s_nop 0                                            // 1 wait state required when next inst writes vgprs held by previous dwordx4 store inst
s_branch label_GW_End_44                           // jump to end
GW_B0_E1_36:

/* edge=1, allocate 6 sgpr. perBatchTmpS=4 perBatchMaskS=2 perElementMaskS=0 elementsPerBatch=4 */
/* optSingleColVgpr=0 optSharedColVgpr=0 optSGPRUsage=BufferLoad_Edge_Mask optSrdIncForRow=0 */

/******************************************/
/* Global Write Alpha Edge Batch #0 (d1,d0,vc1,vc0) = */
/*    (0,0,0,0:vw1); (0,0,0,1:vw1); (1,0,0,0:vw1); (1,0,0,1:vw1) */
/******************************************/

/* calc coords, apply mask, and issue loads (if necessary) */
/* (d1,vc1,d0,vc0)=(0,0,0,0) */
v_cmp_lt_u32 s[54:55], v0, s[sgprSizeI]            // coord0 < size0
v_cmp_lt_u32 s[58:59], v1, s[sgprSizeJ]            // coord1 < size1
s_and_b64 s[58:59], s[54:55], s[58:59]             // in0 && in1
_v_add_lshl_u32 v6, v3, v0, 0x3                    // scaleToBpe: accumulate d0 lower and *= bpe into Cin addr
v_cndmask_b32 v6, -1, v6, s[58:59]                 // LDD clip if OOB. offset
/* (d1,vc1,d0,vc0)=(0,0,0,1) */
_v_add_co_u32 v4, vcc, v0, 1                       // coord0.1: coord0 += d0*sg0*VW + vc0
v_cmp_lt_u32 s[54:55], v4, s[sgprSizeI]            // coord0 < size0
v_cmp_lt_u32 s[58:59], v1, s[sgprSizeJ]            // coord1 < size1
s_and_b64 s[58:59], s[54:55], s[58:59]             // in0 && in1
_v_add_lshl_u32 v7, v3, v4, 0x3                    // scaleToBpe: accumulate d0 lower and *= bpe into Cin addr
v_cndmask_b32 v7, -1, v7, s[58:59]                 // LDD clip if OOB. offset
/* (d1,vc1,d0,vc0)=(1,0,0,0) */
_v_add_co_u32 v1, vcc, v1, 4                       // coord1.1: coord1Vgpr += d1*sg1*VW + vc1

/* Fix for UseInitialStridesCD, emitAddressSetupCode */
s_mul_i32 s54, s[sgprStrideC1J], 4                 // scale stride
_v_add_u32 v2, v2, s54                             // ROWINC- Move cinRowPtr to next row
s_mul_i32 s54, s[sgprStrideD1J], 4                 // scale stride
_v_add_u32 v3, v3, s54                             // Move coutRowPtr to next row
v_cmp_lt_u32 s[54:55], v0, s[sgprSizeI]            // coord0 < size0
v_cmp_lt_u32 s[58:59], v1, s[sgprSizeJ]            // coord1 < size1
s_and_b64 s[58:59], s[54:55], s[58:59]             // in0 && in1
_v_add_lshl_u32 v12, v3, v0, 0x3                   // scaleToBpe: accumulate d0 lower and *= bpe into Cin addr
v_cndmask_b32 v12, -1, v12, s[58:59]               // LDD clip if OOB. offset
/* (d1,vc1,d0,vc0)=(1,0,0,1) */
_v_add_co_u32 v4, vcc, v0, 1                       // coord0.1: coord0 += d0*sg0*VW + vc0
v_cmp_lt_u32 s[54:55], v4, s[sgprSizeI]            // coord0 < size0
v_cmp_lt_u32 s[58:59], v1, s[sgprSizeJ]            // coord1 < size1
s_and_b64 s[58:59], s[54:55], s[58:59]             // in0 && in1
_v_add_lshl_u32 v13, v3, v4, 0x3                   // scaleToBpe: accumulate d0 lower and *= bpe into Cin addr
v_cndmask_b32 v13, -1, v13, s[58:59]               // LDD clip if OOB. offset
v_accvgpr_read_b32 v[vgprValuC+8], acc0 // copy acc to vreg[0]
v_accvgpr_read_b32 v[vgprValuC+9], acc1 // copy acc to vreg[1]
v_accvgpr_read_b32 v[vgprValuC+10], acc8 // copy acc to vreg[2]
v_accvgpr_read_b32 v[vgprValuC+11], acc9 // copy acc to vreg[3]
v_accvgpr_read_b32 v[vgprValuC+14], acc2 // copy acc to vreg[4]
v_accvgpr_read_b32 v[vgprValuC+15], acc3 // copy acc to vreg[5]
v_accvgpr_read_b32 v[vgprValuC+16], acc10 // copy acc to vreg[6]
v_accvgpr_read_b32 v[vgprValuC+17], acc11 // copy acc to vreg[7]
s_nop 1                                            // 2 wait states required before reading vgpr

/* rC *= alpha batchElements=[(0, 0, 0, 0), (0, 0, 0, 1), (1, 0, 0, 0), (1, 0, 0, 1)] */
v_mul_f64 v[vgprValuC+8:vgprValuC+8+1], s[sgprAlpha:sgprAlpha+1], v[vgprValuC+8:vgprValuC+8+1] // *= alpha
v_mul_f64 v[vgprValuC+10:vgprValuC+10+1], s[sgprAlpha:sgprAlpha+1], v[vgprValuC+10:vgprValuC+10+1] // *= alpha
	;; [unrolled: 1-line block ×4, first 2 shown]

/* apply mask, calc new C and issue writes */
_buffer_store_b64 v[8:9], v6, s[sgprSrdD:sgprSrdD+3], 0, offen, offset:0,  sc0 sc1 // store D
_buffer_store_b64 v[10:11], v7, s[sgprSrdD:sgprSrdD+3], 0, offen, offset:0,  sc0 sc1 // store D
	;; [unrolled: 1-line block ×4, first 2 shown]
s_nop 0                                            // 1 wait state required when next inst writes vgprs held by previous dwordx4 store inst
/* optSingleColVgpr=0 optSharedColVgpr=0 optSGPRUsage=BufferLoad_Edge_Mask optSrdIncForRow=0 */

/******************************************/
/* Global Write Alpha Edge Batch #1 (d1,d0,vc1,vc0) = */
/*    (2,0,0,0:vw1); (2,0,0,1:vw1); (3,0,0,0:vw1); (3,0,0,1:vw1) */
/******************************************/

/* calc coords, apply mask, and issue loads (if necessary) */
/* (d1,vc1,d0,vc0)=(2,0,0,0) */
_v_add_co_u32 v1, vcc, v1, 4                       // coord1.1: coord1Vgpr += d1*sg1*VW + vc1

/* Fix for UseInitialStridesCD, emitAddressSetupCode */
s_mul_i32 s54, s[sgprStrideC1J], 4                 // scale stride
_v_add_u32 v2, v2, s54                             // ROWINC- Move cinRowPtr to next row
s_mul_i32 s54, s[sgprStrideD1J], 4                 // scale stride
_v_add_u32 v3, v3, s54                             // Move coutRowPtr to next row
v_cmp_lt_u32 s[54:55], v0, s[sgprSizeI]            // coord0 < size0
v_cmp_lt_u32 s[58:59], v1, s[sgprSizeJ]            // coord1 < size1
s_and_b64 s[58:59], s[54:55], s[58:59]             // in0 && in1
_v_add_lshl_u32 v6, v3, v0, 0x3                    // scaleToBpe: accumulate d0 lower and *= bpe into Cin addr
v_cndmask_b32 v6, -1, v6, s[58:59]                 // LDD clip if OOB. offset
/* (d1,vc1,d0,vc0)=(2,0,0,1) */
_v_add_co_u32 v4, vcc, v0, 1                       // coord0.1: coord0 += d0*sg0*VW + vc0
v_cmp_lt_u32 s[54:55], v4, s[sgprSizeI]            // coord0 < size0
v_cmp_lt_u32 s[58:59], v1, s[sgprSizeJ]            // coord1 < size1
s_and_b64 s[58:59], s[54:55], s[58:59]             // in0 && in1
_v_add_lshl_u32 v7, v3, v4, 0x3                    // scaleToBpe: accumulate d0 lower and *= bpe into Cin addr
v_cndmask_b32 v7, -1, v7, s[58:59]                 // LDD clip if OOB. offset
/* (d1,vc1,d0,vc0)=(3,0,0,0) */
_v_add_co_u32 v1, vcc, v1, 4                       // coord1.1: coord1Vgpr += d1*sg1*VW + vc1

/* Fix for UseInitialStridesCD, emitAddressSetupCode */
s_mul_i32 s54, s[sgprStrideC1J], 4                 // scale stride
_v_add_u32 v2, v2, s54                             // ROWINC- Move cinRowPtr to next row
s_mul_i32 s54, s[sgprStrideD1J], 4                 // scale stride
_v_add_u32 v3, v3, s54                             // Move coutRowPtr to next row
v_cmp_lt_u32 s[54:55], v0, s[sgprSizeI]            // coord0 < size0
v_cmp_lt_u32 s[58:59], v1, s[sgprSizeJ]            // coord1 < size1
s_and_b64 s[58:59], s[54:55], s[58:59]             // in0 && in1
_v_add_lshl_u32 v12, v3, v0, 0x3                   // scaleToBpe: accumulate d0 lower and *= bpe into Cin addr
v_cndmask_b32 v12, -1, v12, s[58:59]               // LDD clip if OOB. offset
/* (d1,vc1,d0,vc0)=(3,0,0,1) */
_v_add_co_u32 v4, vcc, v0, 1                       // coord0.1: coord0 += d0*sg0*VW + vc0
v_cmp_lt_u32 s[54:55], v4, s[sgprSizeI]            // coord0 < size0
v_cmp_lt_u32 s[58:59], v1, s[sgprSizeJ]            // coord1 < size1
s_and_b64 s[58:59], s[54:55], s[58:59]             // in0 && in1
_v_add_lshl_u32 v13, v3, v4, 0x3                   // scaleToBpe: accumulate d0 lower and *= bpe into Cin addr
v_cndmask_b32 v13, -1, v13, s[58:59]               // LDD clip if OOB. offset
v_accvgpr_read_b32 v[vgprValuC+8], acc4 // copy acc to vreg[8]
v_accvgpr_read_b32 v[vgprValuC+9], acc5 // copy acc to vreg[9]
v_accvgpr_read_b32 v[vgprValuC+10], acc12 // copy acc to vreg[10]
v_accvgpr_read_b32 v[vgprValuC+11], acc13 // copy acc to vreg[11]
v_accvgpr_read_b32 v[vgprValuC+14], acc6 // copy acc to vreg[12]
v_accvgpr_read_b32 v[vgprValuC+15], acc7 // copy acc to vreg[13]
v_accvgpr_read_b32 v[vgprValuC+16], acc14 // copy acc to vreg[14]
v_accvgpr_read_b32 v[vgprValuC+17], acc15 // copy acc to vreg[15]
s_nop 1                                            // 2 wait states required before reading vgpr

/* rC *= alpha batchElements=[(2, 0, 0, 0), (2, 0, 0, 1), (3, 0, 0, 0), (3, 0, 0, 1)] */
v_mul_f64 v[vgprValuC+8:vgprValuC+8+1], s[sgprAlpha:sgprAlpha+1], v[vgprValuC+8:vgprValuC+8+1] // *= alpha
v_mul_f64 v[vgprValuC+10:vgprValuC+10+1], s[sgprAlpha:sgprAlpha+1], v[vgprValuC+10:vgprValuC+10+1] // *= alpha
	;; [unrolled: 1-line block ×4, first 2 shown]

/* apply mask, calc new C and issue writes */
_buffer_store_b64 v[8:9], v6, s[sgprSrdD:sgprSrdD+3], 0, offen, offset:0,  sc0 sc1 // store D
_buffer_store_b64 v[10:11], v7, s[sgprSrdD:sgprSrdD+3], 0, offen, offset:0,  sc0 sc1 // store D
	;; [unrolled: 1-line block ×4, first 2 shown]
s_nop 0                                            // 1 wait state required when next inst writes vgprs held by previous dwordx4 store inst
/* optSingleColVgpr=0 optSharedColVgpr=0 optSGPRUsage=BufferLoad_Edge_Mask optSrdIncForRow=0 */

/******************************************/
/* Global Write Alpha Edge Batch #2 (d1,d0,vc1,vc0) = */
/*    (4,0,0,0:vw1); (4,0,0,1:vw1); (5,0,0,0:vw1); (5,0,0,1:vw1) */
/******************************************/

/* calc coords, apply mask, and issue loads (if necessary) */
/* (d1,vc1,d0,vc0)=(4,0,0,0) */
_v_add_co_u32 v1, vcc, v1, 4                       // coord1.1: coord1Vgpr += d1*sg1*VW + vc1

/* Fix for UseInitialStridesCD, emitAddressSetupCode */
s_mul_i32 s54, s[sgprStrideC1J], 4                 // scale stride
_v_add_u32 v2, v2, s54                             // ROWINC- Move cinRowPtr to next row
s_mul_i32 s54, s[sgprStrideD1J], 4                 // scale stride
_v_add_u32 v3, v3, s54                             // Move coutRowPtr to next row
v_cmp_lt_u32 s[54:55], v0, s[sgprSizeI]            // coord0 < size0
v_cmp_lt_u32 s[58:59], v1, s[sgprSizeJ]            // coord1 < size1
s_and_b64 s[58:59], s[54:55], s[58:59]             // in0 && in1
_v_add_lshl_u32 v6, v3, v0, 0x3                    // scaleToBpe: accumulate d0 lower and *= bpe into Cin addr
v_cndmask_b32 v6, -1, v6, s[58:59]                 // LDD clip if OOB. offset
/* (d1,vc1,d0,vc0)=(4,0,0,1) */
_v_add_co_u32 v4, vcc, v0, 1                       // coord0.1: coord0 += d0*sg0*VW + vc0
v_cmp_lt_u32 s[54:55], v4, s[sgprSizeI]            // coord0 < size0
v_cmp_lt_u32 s[58:59], v1, s[sgprSizeJ]            // coord1 < size1
s_and_b64 s[58:59], s[54:55], s[58:59]             // in0 && in1
_v_add_lshl_u32 v7, v3, v4, 0x3                    // scaleToBpe: accumulate d0 lower and *= bpe into Cin addr
v_cndmask_b32 v7, -1, v7, s[58:59]                 // LDD clip if OOB. offset
/* (d1,vc1,d0,vc0)=(5,0,0,0) */
_v_add_co_u32 v1, vcc, v1, 4                       // coord1.1: coord1Vgpr += d1*sg1*VW + vc1

/* Fix for UseInitialStridesCD, emitAddressSetupCode */
s_mul_i32 s54, s[sgprStrideC1J], 4                 // scale stride
_v_add_u32 v2, v2, s54                             // ROWINC- Move cinRowPtr to next row
s_mul_i32 s54, s[sgprStrideD1J], 4                 // scale stride
_v_add_u32 v3, v3, s54                             // Move coutRowPtr to next row
v_cmp_lt_u32 s[54:55], v0, s[sgprSizeI]            // coord0 < size0
v_cmp_lt_u32 s[58:59], v1, s[sgprSizeJ]            // coord1 < size1
s_and_b64 s[58:59], s[54:55], s[58:59]             // in0 && in1
_v_add_lshl_u32 v12, v3, v0, 0x3                   // scaleToBpe: accumulate d0 lower and *= bpe into Cin addr
v_cndmask_b32 v12, -1, v12, s[58:59]               // LDD clip if OOB. offset
/* (d1,vc1,d0,vc0)=(5,0,0,1) */
_v_add_co_u32 v4, vcc, v0, 1                       // coord0.1: coord0 += d0*sg0*VW + vc0
v_cmp_lt_u32 s[54:55], v4, s[sgprSizeI]            // coord0 < size0
v_cmp_lt_u32 s[58:59], v1, s[sgprSizeJ]            // coord1 < size1
s_and_b64 s[58:59], s[54:55], s[58:59]             // in0 && in1
_v_add_lshl_u32 v13, v3, v4, 0x3                   // scaleToBpe: accumulate d0 lower and *= bpe into Cin addr
v_cndmask_b32 v13, -1, v13, s[58:59]               // LDD clip if OOB. offset
v_accvgpr_read_b32 v[vgprValuC+8], acc16 // copy acc to vreg[16]
v_accvgpr_read_b32 v[vgprValuC+9], acc17 // copy acc to vreg[17]
v_accvgpr_read_b32 v[vgprValuC+10], acc24 // copy acc to vreg[18]
v_accvgpr_read_b32 v[vgprValuC+11], acc25 // copy acc to vreg[19]
v_accvgpr_read_b32 v[vgprValuC+14], acc18 // copy acc to vreg[20]
v_accvgpr_read_b32 v[vgprValuC+15], acc19 // copy acc to vreg[21]
v_accvgpr_read_b32 v[vgprValuC+16], acc26 // copy acc to vreg[22]
v_accvgpr_read_b32 v[vgprValuC+17], acc27 // copy acc to vreg[23]
s_nop 1                                            // 2 wait states required before reading vgpr

/* rC *= alpha batchElements=[(4, 0, 0, 0), (4, 0, 0, 1), (5, 0, 0, 0), (5, 0, 0, 1)] */
v_mul_f64 v[vgprValuC+8:vgprValuC+8+1], s[sgprAlpha:sgprAlpha+1], v[vgprValuC+8:vgprValuC+8+1] // *= alpha
v_mul_f64 v[vgprValuC+10:vgprValuC+10+1], s[sgprAlpha:sgprAlpha+1], v[vgprValuC+10:vgprValuC+10+1] // *= alpha
	;; [unrolled: 1-line block ×4, first 2 shown]

/* apply mask, calc new C and issue writes */
_buffer_store_b64 v[8:9], v6, s[sgprSrdD:sgprSrdD+3], 0, offen, offset:0,  sc0 sc1 // store D
_buffer_store_b64 v[10:11], v7, s[sgprSrdD:sgprSrdD+3], 0, offen, offset:0,  sc0 sc1 // store D
	;; [unrolled: 1-line block ×4, first 2 shown]
s_nop 0                                            // 1 wait state required when next inst writes vgprs held by previous dwordx4 store inst
/* optSingleColVgpr=0 optSharedColVgpr=0 optSGPRUsage=BufferLoad_Edge_Mask optSrdIncForRow=0 */

/******************************************/
/* Global Write Alpha Edge Batch #3 (d1,d0,vc1,vc0) = */
/*    (6,0,0,0:vw1); (6,0,0,1:vw1); (7,0,0,0:vw1); (7,0,0,1:vw1) */
/******************************************/

/* calc coords, apply mask, and issue loads (if necessary) */
/* (d1,vc1,d0,vc0)=(6,0,0,0) */
_v_add_co_u32 v1, vcc, v1, 4                       // coord1.1: coord1Vgpr += d1*sg1*VW + vc1

/* Fix for UseInitialStridesCD, emitAddressSetupCode */
s_mul_i32 s54, s[sgprStrideC1J], 4                 // scale stride
_v_add_u32 v2, v2, s54                             // ROWINC- Move cinRowPtr to next row
s_mul_i32 s54, s[sgprStrideD1J], 4                 // scale stride
_v_add_u32 v3, v3, s54                             // Move coutRowPtr to next row
v_cmp_lt_u32 s[54:55], v0, s[sgprSizeI]            // coord0 < size0
v_cmp_lt_u32 s[58:59], v1, s[sgprSizeJ]            // coord1 < size1
s_and_b64 s[58:59], s[54:55], s[58:59]             // in0 && in1
_v_add_lshl_u32 v6, v3, v0, 0x3                    // scaleToBpe: accumulate d0 lower and *= bpe into Cin addr
v_cndmask_b32 v6, -1, v6, s[58:59]                 // LDD clip if OOB. offset
/* (d1,vc1,d0,vc0)=(6,0,0,1) */
_v_add_co_u32 v4, vcc, v0, 1                       // coord0.1: coord0 += d0*sg0*VW + vc0
v_cmp_lt_u32 s[54:55], v4, s[sgprSizeI]            // coord0 < size0
v_cmp_lt_u32 s[58:59], v1, s[sgprSizeJ]            // coord1 < size1
s_and_b64 s[58:59], s[54:55], s[58:59]             // in0 && in1
_v_add_lshl_u32 v7, v3, v4, 0x3                    // scaleToBpe: accumulate d0 lower and *= bpe into Cin addr
v_cndmask_b32 v7, -1, v7, s[58:59]                 // LDD clip if OOB. offset
/* (d1,vc1,d0,vc0)=(7,0,0,0) */
_v_add_co_u32 v1, vcc, v1, 4                       // coord1.1: coord1Vgpr += d1*sg1*VW + vc1

/* Fix for UseInitialStridesCD, emitAddressSetupCode */
s_mul_i32 s54, s[sgprStrideC1J], 4                 // scale stride
_v_add_u32 v2, v2, s54                             // ROWINC- Move cinRowPtr to next row
s_mul_i32 s54, s[sgprStrideD1J], 4                 // scale stride
_v_add_u32 v3, v3, s54                             // Move coutRowPtr to next row
v_cmp_lt_u32 s[54:55], v0, s[sgprSizeI]            // coord0 < size0
v_cmp_lt_u32 s[58:59], v1, s[sgprSizeJ]            // coord1 < size1
s_and_b64 s[58:59], s[54:55], s[58:59]             // in0 && in1
_v_add_lshl_u32 v12, v3, v0, 0x3                   // scaleToBpe: accumulate d0 lower and *= bpe into Cin addr
v_cndmask_b32 v12, -1, v12, s[58:59]               // LDD clip if OOB. offset
/* (d1,vc1,d0,vc0)=(7,0,0,1) */
_v_add_co_u32 v4, vcc, v0, 1                       // coord0.1: coord0 += d0*sg0*VW + vc0
v_cmp_lt_u32 s[54:55], v4, s[sgprSizeI]            // coord0 < size0
v_cmp_lt_u32 s[58:59], v1, s[sgprSizeJ]            // coord1 < size1
s_and_b64 s[58:59], s[54:55], s[58:59]             // in0 && in1
_v_add_lshl_u32 v13, v3, v4, 0x3                   // scaleToBpe: accumulate d0 lower and *= bpe into Cin addr
v_cndmask_b32 v13, -1, v13, s[58:59]               // LDD clip if OOB. offset
v_accvgpr_read_b32 v[vgprValuC+8], acc20 // copy acc to vreg[24]
v_accvgpr_read_b32 v[vgprValuC+9], acc21 // copy acc to vreg[25]
v_accvgpr_read_b32 v[vgprValuC+10], acc28 // copy acc to vreg[26]
v_accvgpr_read_b32 v[vgprValuC+11], acc29 // copy acc to vreg[27]
v_accvgpr_read_b32 v[vgprValuC+14], acc22 // copy acc to vreg[28]
v_accvgpr_read_b32 v[vgprValuC+15], acc23 // copy acc to vreg[29]
v_accvgpr_read_b32 v[vgprValuC+16], acc30 // copy acc to vreg[30]
v_accvgpr_read_b32 v[vgprValuC+17], acc31 // copy acc to vreg[31]
s_nop 1                                            // 2 wait states required before reading vgpr

/* rC *= alpha batchElements=[(6, 0, 0, 0), (6, 0, 0, 1), (7, 0, 0, 0), (7, 0, 0, 1)] */
v_mul_f64 v[vgprValuC+8:vgprValuC+8+1], s[sgprAlpha:sgprAlpha+1], v[vgprValuC+8:vgprValuC+8+1] // *= alpha
v_mul_f64 v[vgprValuC+10:vgprValuC+10+1], s[sgprAlpha:sgprAlpha+1], v[vgprValuC+10:vgprValuC+10+1] // *= alpha
	;; [unrolled: 1-line block ×4, first 2 shown]

/* apply mask, calc new C and issue writes */
_buffer_store_b64 v[8:9], v6, s[sgprSrdD:sgprSrdD+3], 0, offen, offset:0,  sc0 sc1 // store D
_buffer_store_b64 v[10:11], v7, s[sgprSrdD:sgprSrdD+3], 0, offen, offset:0,  sc0 sc1 // store D
	;; [unrolled: 1-line block ×4, first 2 shown]
s_nop 0                                            // 1 wait state required when next inst writes vgprs held by previous dwordx4 store inst
/* optSingleColVgpr=0 optSharedColVgpr=0 optSGPRUsage=BufferLoad_Edge_Mask optSrdIncForRow=0 */

/******************************************/
/* Global Write Alpha Edge Batch #4 (d1,d0,vc1,vc0) = */
/*    (8,0,0,0:vw1); (8,0,0,1:vw1); (9,0,0,0:vw1); (9,0,0,1:vw1) */
/******************************************/

/* calc coords, apply mask, and issue loads (if necessary) */
/* (d1,vc1,d0,vc0)=(8,0,0,0) */
_v_add_co_u32 v1, vcc, v1, 4                       // coord1.1: coord1Vgpr += d1*sg1*VW + vc1

/* Fix for UseInitialStridesCD, emitAddressSetupCode */
s_mul_i32 s54, s[sgprStrideC1J], 4                 // scale stride
_v_add_u32 v2, v2, s54                             // ROWINC- Move cinRowPtr to next row
s_mul_i32 s54, s[sgprStrideD1J], 4                 // scale stride
_v_add_u32 v3, v3, s54                             // Move coutRowPtr to next row
v_cmp_lt_u32 s[54:55], v0, s[sgprSizeI]            // coord0 < size0
v_cmp_lt_u32 s[58:59], v1, s[sgprSizeJ]            // coord1 < size1
s_and_b64 s[58:59], s[54:55], s[58:59]             // in0 && in1
_v_add_lshl_u32 v6, v3, v0, 0x3                    // scaleToBpe: accumulate d0 lower and *= bpe into Cin addr
v_cndmask_b32 v6, -1, v6, s[58:59]                 // LDD clip if OOB. offset
/* (d1,vc1,d0,vc0)=(8,0,0,1) */
_v_add_co_u32 v4, vcc, v0, 1                       // coord0.1: coord0 += d0*sg0*VW + vc0
v_cmp_lt_u32 s[54:55], v4, s[sgprSizeI]            // coord0 < size0
v_cmp_lt_u32 s[58:59], v1, s[sgprSizeJ]            // coord1 < size1
s_and_b64 s[58:59], s[54:55], s[58:59]             // in0 && in1
_v_add_lshl_u32 v7, v3, v4, 0x3                    // scaleToBpe: accumulate d0 lower and *= bpe into Cin addr
v_cndmask_b32 v7, -1, v7, s[58:59]                 // LDD clip if OOB. offset
/* (d1,vc1,d0,vc0)=(9,0,0,0) */
_v_add_co_u32 v1, vcc, v1, 4                       // coord1.1: coord1Vgpr += d1*sg1*VW + vc1

/* Fix for UseInitialStridesCD, emitAddressSetupCode */
s_mul_i32 s54, s[sgprStrideC1J], 4                 // scale stride
_v_add_u32 v2, v2, s54                             // ROWINC- Move cinRowPtr to next row
s_mul_i32 s54, s[sgprStrideD1J], 4                 // scale stride
_v_add_u32 v3, v3, s54                             // Move coutRowPtr to next row
v_cmp_lt_u32 s[54:55], v0, s[sgprSizeI]            // coord0 < size0
v_cmp_lt_u32 s[58:59], v1, s[sgprSizeJ]            // coord1 < size1
s_and_b64 s[58:59], s[54:55], s[58:59]             // in0 && in1
_v_add_lshl_u32 v12, v3, v0, 0x3                   // scaleToBpe: accumulate d0 lower and *= bpe into Cin addr
v_cndmask_b32 v12, -1, v12, s[58:59]               // LDD clip if OOB. offset
/* (d1,vc1,d0,vc0)=(9,0,0,1) */
_v_add_co_u32 v4, vcc, v0, 1                       // coord0.1: coord0 += d0*sg0*VW + vc0
v_cmp_lt_u32 s[54:55], v4, s[sgprSizeI]            // coord0 < size0
v_cmp_lt_u32 s[58:59], v1, s[sgprSizeJ]            // coord1 < size1
s_and_b64 s[58:59], s[54:55], s[58:59]             // in0 && in1
_v_add_lshl_u32 v13, v3, v4, 0x3                   // scaleToBpe: accumulate d0 lower and *= bpe into Cin addr
v_cndmask_b32 v13, -1, v13, s[58:59]               // LDD clip if OOB. offset
v_accvgpr_read_b32 v[vgprValuC+8], acc32 // copy acc to vreg[32]
v_accvgpr_read_b32 v[vgprValuC+9], acc33 // copy acc to vreg[33]
v_accvgpr_read_b32 v[vgprValuC+10], acc40 // copy acc to vreg[34]
v_accvgpr_read_b32 v[vgprValuC+11], acc41 // copy acc to vreg[35]
v_accvgpr_read_b32 v[vgprValuC+14], acc34 // copy acc to vreg[36]
v_accvgpr_read_b32 v[vgprValuC+15], acc35 // copy acc to vreg[37]
v_accvgpr_read_b32 v[vgprValuC+16], acc42 // copy acc to vreg[38]
v_accvgpr_read_b32 v[vgprValuC+17], acc43 // copy acc to vreg[39]
s_nop 1                                            // 2 wait states required before reading vgpr

/* rC *= alpha batchElements=[(8, 0, 0, 0), (8, 0, 0, 1), (9, 0, 0, 0), (9, 0, 0, 1)] */
v_mul_f64 v[vgprValuC+8:vgprValuC+8+1], s[sgprAlpha:sgprAlpha+1], v[vgprValuC+8:vgprValuC+8+1] // *= alpha
v_mul_f64 v[vgprValuC+10:vgprValuC+10+1], s[sgprAlpha:sgprAlpha+1], v[vgprValuC+10:vgprValuC+10+1] // *= alpha
	;; [unrolled: 1-line block ×4, first 2 shown]

/* apply mask, calc new C and issue writes */
_buffer_store_b64 v[8:9], v6, s[sgprSrdD:sgprSrdD+3], 0, offen, offset:0,  sc0 sc1 // store D
_buffer_store_b64 v[10:11], v7, s[sgprSrdD:sgprSrdD+3], 0, offen, offset:0,  sc0 sc1 // store D
_buffer_store_b64 v[14:15], v12, s[sgprSrdD:sgprSrdD+3], 0, offen, offset:0,  sc0 sc1 // store D
_buffer_store_b64 v[16:17], v13, s[sgprSrdD:sgprSrdD+3], 0, offen, offset:0,  sc0 sc1 // store D
s_nop 0                                            // 1 wait state required when next inst writes vgprs held by previous dwordx4 store inst
/* optSingleColVgpr=0 optSharedColVgpr=0 optSGPRUsage=BufferLoad_Edge_Mask optSrdIncForRow=0 */

/******************************************/
/* Global Write Alpha Edge Batch #5 (d1,d0,vc1,vc0) = */
/*    (10,0,0,0:vw1); (10,0,0,1:vw1); (11,0,0,0:vw1); (11,0,0,1:vw1) */
/******************************************/

/* calc coords, apply mask, and issue loads (if necessary) */
/* (d1,vc1,d0,vc0)=(10,0,0,0) */
_v_add_co_u32 v1, vcc, v1, 4                       // coord1.1: coord1Vgpr += d1*sg1*VW + vc1

/* Fix for UseInitialStridesCD, emitAddressSetupCode */
s_mul_i32 s54, s[sgprStrideC1J], 4                 // scale stride
_v_add_u32 v2, v2, s54                             // ROWINC- Move cinRowPtr to next row
s_mul_i32 s54, s[sgprStrideD1J], 4                 // scale stride
_v_add_u32 v3, v3, s54                             // Move coutRowPtr to next row
v_cmp_lt_u32 s[54:55], v0, s[sgprSizeI]            // coord0 < size0
v_cmp_lt_u32 s[58:59], v1, s[sgprSizeJ]            // coord1 < size1
s_and_b64 s[58:59], s[54:55], s[58:59]             // in0 && in1
_v_add_lshl_u32 v6, v3, v0, 0x3                    // scaleToBpe: accumulate d0 lower and *= bpe into Cin addr
v_cndmask_b32 v6, -1, v6, s[58:59]                 // LDD clip if OOB. offset
/* (d1,vc1,d0,vc0)=(10,0,0,1) */
_v_add_co_u32 v4, vcc, v0, 1                       // coord0.1: coord0 += d0*sg0*VW + vc0
v_cmp_lt_u32 s[54:55], v4, s[sgprSizeI]            // coord0 < size0
v_cmp_lt_u32 s[58:59], v1, s[sgprSizeJ]            // coord1 < size1
s_and_b64 s[58:59], s[54:55], s[58:59]             // in0 && in1
_v_add_lshl_u32 v7, v3, v4, 0x3                    // scaleToBpe: accumulate d0 lower and *= bpe into Cin addr
v_cndmask_b32 v7, -1, v7, s[58:59]                 // LDD clip if OOB. offset
/* (d1,vc1,d0,vc0)=(11,0,0,0) */
_v_add_co_u32 v1, vcc, v1, 4                       // coord1.1: coord1Vgpr += d1*sg1*VW + vc1

/* Fix for UseInitialStridesCD, emitAddressSetupCode */
s_mul_i32 s54, s[sgprStrideC1J], 4                 // scale stride
_v_add_u32 v2, v2, s54                             // ROWINC- Move cinRowPtr to next row
s_mul_i32 s54, s[sgprStrideD1J], 4                 // scale stride
_v_add_u32 v3, v3, s54                             // Move coutRowPtr to next row
v_cmp_lt_u32 s[54:55], v0, s[sgprSizeI]            // coord0 < size0
v_cmp_lt_u32 s[58:59], v1, s[sgprSizeJ]            // coord1 < size1
s_and_b64 s[58:59], s[54:55], s[58:59]             // in0 && in1
_v_add_lshl_u32 v12, v3, v0, 0x3                   // scaleToBpe: accumulate d0 lower and *= bpe into Cin addr
v_cndmask_b32 v12, -1, v12, s[58:59]               // LDD clip if OOB. offset
/* (d1,vc1,d0,vc0)=(11,0,0,1) */
_v_add_co_u32 v4, vcc, v0, 1                       // coord0.1: coord0 += d0*sg0*VW + vc0
v_cmp_lt_u32 s[54:55], v4, s[sgprSizeI]            // coord0 < size0
v_cmp_lt_u32 s[58:59], v1, s[sgprSizeJ]            // coord1 < size1
s_and_b64 s[58:59], s[54:55], s[58:59]             // in0 && in1
_v_add_lshl_u32 v13, v3, v4, 0x3                   // scaleToBpe: accumulate d0 lower and *= bpe into Cin addr
v_cndmask_b32 v13, -1, v13, s[58:59]               // LDD clip if OOB. offset
v_accvgpr_read_b32 v[vgprValuC+8], acc36 // copy acc to vreg[40]
v_accvgpr_read_b32 v[vgprValuC+9], acc37 // copy acc to vreg[41]
v_accvgpr_read_b32 v[vgprValuC+10], acc44 // copy acc to vreg[42]
v_accvgpr_read_b32 v[vgprValuC+11], acc45 // copy acc to vreg[43]
v_accvgpr_read_b32 v[vgprValuC+14], acc38 // copy acc to vreg[44]
v_accvgpr_read_b32 v[vgprValuC+15], acc39 // copy acc to vreg[45]
v_accvgpr_read_b32 v[vgprValuC+16], acc46 // copy acc to vreg[46]
v_accvgpr_read_b32 v[vgprValuC+17], acc47 // copy acc to vreg[47]
s_nop 1                                            // 2 wait states required before reading vgpr

/* rC *= alpha batchElements=[(10, 0, 0, 0), (10, 0, 0, 1), (11, 0, 0, 0), (11, 0, 0, 1)] */
v_mul_f64 v[vgprValuC+8:vgprValuC+8+1], s[sgprAlpha:sgprAlpha+1], v[vgprValuC+8:vgprValuC+8+1] // *= alpha
v_mul_f64 v[vgprValuC+10:vgprValuC+10+1], s[sgprAlpha:sgprAlpha+1], v[vgprValuC+10:vgprValuC+10+1] // *= alpha
	;; [unrolled: 1-line block ×4, first 2 shown]

/* apply mask, calc new C and issue writes */
_buffer_store_b64 v[8:9], v6, s[sgprSrdD:sgprSrdD+3], 0, offen, offset:0,  sc0 sc1 // store D
_buffer_store_b64 v[10:11], v7, s[sgprSrdD:sgprSrdD+3], 0, offen, offset:0,  sc0 sc1 // store D
	;; [unrolled: 1-line block ×4, first 2 shown]
s_nop 0                                            // 1 wait state required when next inst writes vgprs held by previous dwordx4 store inst
/* optSingleColVgpr=0 optSharedColVgpr=0 optSGPRUsage=BufferLoad_Edge_Mask optSrdIncForRow=0 */

/******************************************/
/* Global Write Alpha Edge Batch #6 (d1,d0,vc1,vc0) = */
/*    (12,0,0,0:vw1); (12,0,0,1:vw1); (13,0,0,0:vw1); (13,0,0,1:vw1) */
/******************************************/

/* calc coords, apply mask, and issue loads (if necessary) */
/* (d1,vc1,d0,vc0)=(12,0,0,0) */
_v_add_co_u32 v1, vcc, v1, 4                       // coord1.1: coord1Vgpr += d1*sg1*VW + vc1

/* Fix for UseInitialStridesCD, emitAddressSetupCode */
s_mul_i32 s54, s[sgprStrideC1J], 4                 // scale stride
_v_add_u32 v2, v2, s54                             // ROWINC- Move cinRowPtr to next row
s_mul_i32 s54, s[sgprStrideD1J], 4                 // scale stride
_v_add_u32 v3, v3, s54                             // Move coutRowPtr to next row
v_cmp_lt_u32 s[54:55], v0, s[sgprSizeI]            // coord0 < size0
v_cmp_lt_u32 s[58:59], v1, s[sgprSizeJ]            // coord1 < size1
s_and_b64 s[58:59], s[54:55], s[58:59]             // in0 && in1
_v_add_lshl_u32 v6, v3, v0, 0x3                    // scaleToBpe: accumulate d0 lower and *= bpe into Cin addr
v_cndmask_b32 v6, -1, v6, s[58:59]                 // LDD clip if OOB. offset
/* (d1,vc1,d0,vc0)=(12,0,0,1) */
_v_add_co_u32 v4, vcc, v0, 1                       // coord0.1: coord0 += d0*sg0*VW + vc0
v_cmp_lt_u32 s[54:55], v4, s[sgprSizeI]            // coord0 < size0
v_cmp_lt_u32 s[58:59], v1, s[sgprSizeJ]            // coord1 < size1
s_and_b64 s[58:59], s[54:55], s[58:59]             // in0 && in1
_v_add_lshl_u32 v7, v3, v4, 0x3                    // scaleToBpe: accumulate d0 lower and *= bpe into Cin addr
v_cndmask_b32 v7, -1, v7, s[58:59]                 // LDD clip if OOB. offset
/* (d1,vc1,d0,vc0)=(13,0,0,0) */
_v_add_co_u32 v1, vcc, v1, 4                       // coord1.1: coord1Vgpr += d1*sg1*VW + vc1

/* Fix for UseInitialStridesCD, emitAddressSetupCode */
s_mul_i32 s54, s[sgprStrideC1J], 4                 // scale stride
_v_add_u32 v2, v2, s54                             // ROWINC- Move cinRowPtr to next row
s_mul_i32 s54, s[sgprStrideD1J], 4                 // scale stride
_v_add_u32 v3, v3, s54                             // Move coutRowPtr to next row
v_cmp_lt_u32 s[54:55], v0, s[sgprSizeI]            // coord0 < size0
v_cmp_lt_u32 s[58:59], v1, s[sgprSizeJ]            // coord1 < size1
s_and_b64 s[58:59], s[54:55], s[58:59]             // in0 && in1
_v_add_lshl_u32 v12, v3, v0, 0x3                   // scaleToBpe: accumulate d0 lower and *= bpe into Cin addr
v_cndmask_b32 v12, -1, v12, s[58:59]               // LDD clip if OOB. offset
/* (d1,vc1,d0,vc0)=(13,0,0,1) */
_v_add_co_u32 v4, vcc, v0, 1                       // coord0.1: coord0 += d0*sg0*VW + vc0
v_cmp_lt_u32 s[54:55], v4, s[sgprSizeI]            // coord0 < size0
v_cmp_lt_u32 s[58:59], v1, s[sgprSizeJ]            // coord1 < size1
s_and_b64 s[58:59], s[54:55], s[58:59]             // in0 && in1
_v_add_lshl_u32 v13, v3, v4, 0x3                   // scaleToBpe: accumulate d0 lower and *= bpe into Cin addr
v_cndmask_b32 v13, -1, v13, s[58:59]               // LDD clip if OOB. offset
v_accvgpr_read_b32 v[vgprValuC+8], acc48 // copy acc to vreg[48]
v_accvgpr_read_b32 v[vgprValuC+9], acc49 // copy acc to vreg[49]
v_accvgpr_read_b32 v[vgprValuC+10], acc56 // copy acc to vreg[50]
v_accvgpr_read_b32 v[vgprValuC+11], acc57 // copy acc to vreg[51]
v_accvgpr_read_b32 v[vgprValuC+14], acc50 // copy acc to vreg[52]
v_accvgpr_read_b32 v[vgprValuC+15], acc51 // copy acc to vreg[53]
v_accvgpr_read_b32 v[vgprValuC+16], acc58 // copy acc to vreg[54]
v_accvgpr_read_b32 v[vgprValuC+17], acc59 // copy acc to vreg[55]
s_nop 1                                            // 2 wait states required before reading vgpr

/* rC *= alpha batchElements=[(12, 0, 0, 0), (12, 0, 0, 1), (13, 0, 0, 0), (13, 0, 0, 1)] */
v_mul_f64 v[vgprValuC+8:vgprValuC+8+1], s[sgprAlpha:sgprAlpha+1], v[vgprValuC+8:vgprValuC+8+1] // *= alpha
v_mul_f64 v[vgprValuC+10:vgprValuC+10+1], s[sgprAlpha:sgprAlpha+1], v[vgprValuC+10:vgprValuC+10+1] // *= alpha
	;; [unrolled: 1-line block ×4, first 2 shown]

/* apply mask, calc new C and issue writes */
_buffer_store_b64 v[8:9], v6, s[sgprSrdD:sgprSrdD+3], 0, offen, offset:0,  sc0 sc1 // store D
_buffer_store_b64 v[10:11], v7, s[sgprSrdD:sgprSrdD+3], 0, offen, offset:0,  sc0 sc1 // store D
_buffer_store_b64 v[14:15], v12, s[sgprSrdD:sgprSrdD+3], 0, offen, offset:0,  sc0 sc1 // store D
_buffer_store_b64 v[16:17], v13, s[sgprSrdD:sgprSrdD+3], 0, offen, offset:0,  sc0 sc1 // store D
s_nop 0                                            // 1 wait state required when next inst writes vgprs held by previous dwordx4 store inst
/* optSingleColVgpr=0 optSharedColVgpr=0 optSGPRUsage=BufferLoad_Edge_Mask optSrdIncForRow=0 */

/******************************************/
/* Global Write Alpha Edge Batch #7 (d1,d0,vc1,vc0) = */
/*    (14,0,0,0:vw1); (14,0,0,1:vw1); (15,0,0,0:vw1); (15,0,0,1:vw1) */
/******************************************/

/* calc coords, apply mask, and issue loads (if necessary) */
/* (d1,vc1,d0,vc0)=(14,0,0,0) */
_v_add_co_u32 v1, vcc, v1, 4                       // coord1.1: coord1Vgpr += d1*sg1*VW + vc1

/* Fix for UseInitialStridesCD, emitAddressSetupCode */
s_mul_i32 s54, s[sgprStrideC1J], 4                 // scale stride
_v_add_u32 v2, v2, s54                             // ROWINC- Move cinRowPtr to next row
s_mul_i32 s54, s[sgprStrideD1J], 4                 // scale stride
_v_add_u32 v3, v3, s54                             // Move coutRowPtr to next row
v_cmp_lt_u32 s[54:55], v0, s[sgprSizeI]            // coord0 < size0
v_cmp_lt_u32 s[58:59], v1, s[sgprSizeJ]            // coord1 < size1
s_and_b64 s[58:59], s[54:55], s[58:59]             // in0 && in1
_v_add_lshl_u32 v6, v3, v0, 0x3                    // scaleToBpe: accumulate d0 lower and *= bpe into Cin addr
v_cndmask_b32 v6, -1, v6, s[58:59]                 // LDD clip if OOB. offset
/* (d1,vc1,d0,vc0)=(14,0,0,1) */
_v_add_co_u32 v4, vcc, v0, 1                       // coord0.1: coord0 += d0*sg0*VW + vc0
v_cmp_lt_u32 s[54:55], v4, s[sgprSizeI]            // coord0 < size0
v_cmp_lt_u32 s[58:59], v1, s[sgprSizeJ]            // coord1 < size1
s_and_b64 s[58:59], s[54:55], s[58:59]             // in0 && in1
_v_add_lshl_u32 v7, v3, v4, 0x3                    // scaleToBpe: accumulate d0 lower and *= bpe into Cin addr
v_cndmask_b32 v7, -1, v7, s[58:59]                 // LDD clip if OOB. offset
/* (d1,vc1,d0,vc0)=(15,0,0,0) */
_v_add_co_u32 v1, vcc, v1, 4                       // coord1.1: coord1Vgpr += d1*sg1*VW + vc1

/* Fix for UseInitialStridesCD, emitAddressSetupCode */
s_mul_i32 s54, s[sgprStrideC1J], 4                 // scale stride
_v_add_u32 v2, v2, s54                             // ROWINC- Move cinRowPtr to next row
s_mul_i32 s54, s[sgprStrideD1J], 4                 // scale stride
_v_add_u32 v3, v3, s54                             // Move coutRowPtr to next row
v_cmp_lt_u32 s[54:55], v0, s[sgprSizeI]            // coord0 < size0
v_cmp_lt_u32 s[58:59], v1, s[sgprSizeJ]            // coord1 < size1
s_and_b64 s[58:59], s[54:55], s[58:59]             // in0 && in1
_v_add_lshl_u32 v12, v3, v0, 0x3                   // scaleToBpe: accumulate d0 lower and *= bpe into Cin addr
v_cndmask_b32 v12, -1, v12, s[58:59]               // LDD clip if OOB. offset
/* (d1,vc1,d0,vc0)=(15,0,0,1) */
_v_add_co_u32 v4, vcc, v0, 1                       // coord0.1: coord0 += d0*sg0*VW + vc0
v_cmp_lt_u32 s[54:55], v4, s[sgprSizeI]            // coord0 < size0
v_cmp_lt_u32 s[58:59], v1, s[sgprSizeJ]            // coord1 < size1
s_and_b64 s[58:59], s[54:55], s[58:59]             // in0 && in1
_v_add_lshl_u32 v13, v3, v4, 0x3                   // scaleToBpe: accumulate d0 lower and *= bpe into Cin addr
v_cndmask_b32 v13, -1, v13, s[58:59]               // LDD clip if OOB. offset
v_accvgpr_read_b32 v[vgprValuC+8], acc52 // copy acc to vreg[56]
v_accvgpr_read_b32 v[vgprValuC+9], acc53 // copy acc to vreg[57]
v_accvgpr_read_b32 v[vgprValuC+10], acc60 // copy acc to vreg[58]
v_accvgpr_read_b32 v[vgprValuC+11], acc61 // copy acc to vreg[59]
v_accvgpr_read_b32 v[vgprValuC+14], acc54 // copy acc to vreg[60]
v_accvgpr_read_b32 v[vgprValuC+15], acc55 // copy acc to vreg[61]
v_accvgpr_read_b32 v[vgprValuC+16], acc62 // copy acc to vreg[62]
v_accvgpr_read_b32 v[vgprValuC+17], acc63 // copy acc to vreg[63]
s_nop 1                                            // 2 wait states required before reading vgpr

/* rC *= alpha batchElements=[(14, 0, 0, 0), (14, 0, 0, 1), (15, 0, 0, 0), (15, 0, 0, 1)] */
v_mul_f64 v[vgprValuC+8:vgprValuC+8+1], s[sgprAlpha:sgprAlpha+1], v[vgprValuC+8:vgprValuC+8+1] // *= alpha
v_mul_f64 v[vgprValuC+10:vgprValuC+10+1], s[sgprAlpha:sgprAlpha+1], v[vgprValuC+10:vgprValuC+10+1] // *= alpha
	;; [unrolled: 1-line block ×4, first 2 shown]

/* apply mask, calc new C and issue writes */
_buffer_store_b64 v[8:9], v6, s[sgprSrdD:sgprSrdD+3], 0, offen, offset:0,  sc0 sc1 // store D
_buffer_store_b64 v[10:11], v7, s[sgprSrdD:sgprSrdD+3], 0, offen, offset:0,  sc0 sc1 // store D
	;; [unrolled: 1-line block ×4, first 2 shown]
s_nop 0                                            // 1 wait state required when next inst writes vgprs held by previous dwordx4 store inst
/* optSingleColVgpr=0 optSharedColVgpr=0 optSGPRUsage=BufferLoad_Edge_Mask optSrdIncForRow=0 */

/******************************************/
/* Global Write Alpha Edge Batch #8 (d1,d0,vc1,vc0) = */
/*    (16,0,0,0:vw1); (16,0,0,1:vw1); (17,0,0,0:vw1); (17,0,0,1:vw1) */
/******************************************/

/* calc coords, apply mask, and issue loads (if necessary) */
/* (d1,vc1,d0,vc0)=(16,0,0,0) */
_v_add_co_u32 v1, vcc, v1, 4                       // coord1.1: coord1Vgpr += d1*sg1*VW + vc1

/* Fix for UseInitialStridesCD, emitAddressSetupCode */
s_mul_i32 s54, s[sgprStrideC1J], 4                 // scale stride
_v_add_u32 v2, v2, s54                             // ROWINC- Move cinRowPtr to next row
s_mul_i32 s54, s[sgprStrideD1J], 4                 // scale stride
_v_add_u32 v3, v3, s54                             // Move coutRowPtr to next row
v_cmp_lt_u32 s[54:55], v0, s[sgprSizeI]            // coord0 < size0
v_cmp_lt_u32 s[58:59], v1, s[sgprSizeJ]            // coord1 < size1
s_and_b64 s[58:59], s[54:55], s[58:59]             // in0 && in1
_v_add_lshl_u32 v6, v3, v0, 0x3                    // scaleToBpe: accumulate d0 lower and *= bpe into Cin addr
v_cndmask_b32 v6, -1, v6, s[58:59]                 // LDD clip if OOB. offset
/* (d1,vc1,d0,vc0)=(16,0,0,1) */
_v_add_co_u32 v4, vcc, v0, 1                       // coord0.1: coord0 += d0*sg0*VW + vc0
v_cmp_lt_u32 s[54:55], v4, s[sgprSizeI]            // coord0 < size0
v_cmp_lt_u32 s[58:59], v1, s[sgprSizeJ]            // coord1 < size1
s_and_b64 s[58:59], s[54:55], s[58:59]             // in0 && in1
_v_add_lshl_u32 v7, v3, v4, 0x3                    // scaleToBpe: accumulate d0 lower and *= bpe into Cin addr
v_cndmask_b32 v7, -1, v7, s[58:59]                 // LDD clip if OOB. offset
/* (d1,vc1,d0,vc0)=(17,0,0,0) */
_v_add_co_u32 v1, vcc, v1, 4                       // coord1.1: coord1Vgpr += d1*sg1*VW + vc1

/* Fix for UseInitialStridesCD, emitAddressSetupCode */
s_mul_i32 s54, s[sgprStrideC1J], 4                 // scale stride
_v_add_u32 v2, v2, s54                             // ROWINC- Move cinRowPtr to next row
s_mul_i32 s54, s[sgprStrideD1J], 4                 // scale stride
_v_add_u32 v3, v3, s54                             // Move coutRowPtr to next row
v_cmp_lt_u32 s[54:55], v0, s[sgprSizeI]            // coord0 < size0
v_cmp_lt_u32 s[58:59], v1, s[sgprSizeJ]            // coord1 < size1
s_and_b64 s[58:59], s[54:55], s[58:59]             // in0 && in1
_v_add_lshl_u32 v12, v3, v0, 0x3                   // scaleToBpe: accumulate d0 lower and *= bpe into Cin addr
v_cndmask_b32 v12, -1, v12, s[58:59]               // LDD clip if OOB. offset
/* (d1,vc1,d0,vc0)=(17,0,0,1) */
_v_add_co_u32 v4, vcc, v0, 1                       // coord0.1: coord0 += d0*sg0*VW + vc0
v_cmp_lt_u32 s[54:55], v4, s[sgprSizeI]            // coord0 < size0
v_cmp_lt_u32 s[58:59], v1, s[sgprSizeJ]            // coord1 < size1
s_and_b64 s[58:59], s[54:55], s[58:59]             // in0 && in1
_v_add_lshl_u32 v13, v3, v4, 0x3                   // scaleToBpe: accumulate d0 lower and *= bpe into Cin addr
v_cndmask_b32 v13, -1, v13, s[58:59]               // LDD clip if OOB. offset
v_accvgpr_read_b32 v[vgprValuC+8], acc64 // copy acc to vreg[64]
v_accvgpr_read_b32 v[vgprValuC+9], acc65 // copy acc to vreg[65]
v_accvgpr_read_b32 v[vgprValuC+10], acc72 // copy acc to vreg[66]
v_accvgpr_read_b32 v[vgprValuC+11], acc73 // copy acc to vreg[67]
v_accvgpr_read_b32 v[vgprValuC+14], acc66 // copy acc to vreg[68]
v_accvgpr_read_b32 v[vgprValuC+15], acc67 // copy acc to vreg[69]
v_accvgpr_read_b32 v[vgprValuC+16], acc74 // copy acc to vreg[70]
v_accvgpr_read_b32 v[vgprValuC+17], acc75 // copy acc to vreg[71]
s_nop 1                                            // 2 wait states required before reading vgpr

/* rC *= alpha batchElements=[(16, 0, 0, 0), (16, 0, 0, 1), (17, 0, 0, 0), (17, 0, 0, 1)] */
v_mul_f64 v[vgprValuC+8:vgprValuC+8+1], s[sgprAlpha:sgprAlpha+1], v[vgprValuC+8:vgprValuC+8+1] // *= alpha
v_mul_f64 v[vgprValuC+10:vgprValuC+10+1], s[sgprAlpha:sgprAlpha+1], v[vgprValuC+10:vgprValuC+10+1] // *= alpha
	;; [unrolled: 1-line block ×4, first 2 shown]

/* apply mask, calc new C and issue writes */
_buffer_store_b64 v[8:9], v6, s[sgprSrdD:sgprSrdD+3], 0, offen, offset:0,  sc0 sc1 // store D
_buffer_store_b64 v[10:11], v7, s[sgprSrdD:sgprSrdD+3], 0, offen, offset:0,  sc0 sc1 // store D
	;; [unrolled: 1-line block ×4, first 2 shown]
s_nop 0                                            // 1 wait state required when next inst writes vgprs held by previous dwordx4 store inst
/* optSingleColVgpr=0 optSharedColVgpr=0 optSGPRUsage=BufferLoad_Edge_Mask optSrdIncForRow=0 */

/******************************************/
/* Global Write Alpha Edge Batch #9 (d1,d0,vc1,vc0) = */
/*    (18,0,0,0:vw1); (18,0,0,1:vw1); (19,0,0,0:vw1); (19,0,0,1:vw1) */
/******************************************/

/* calc coords, apply mask, and issue loads (if necessary) */
/* (d1,vc1,d0,vc0)=(18,0,0,0) */
_v_add_co_u32 v1, vcc, v1, 4                       // coord1.1: coord1Vgpr += d1*sg1*VW + vc1

/* Fix for UseInitialStridesCD, emitAddressSetupCode */
s_mul_i32 s54, s[sgprStrideC1J], 4                 // scale stride
_v_add_u32 v2, v2, s54                             // ROWINC- Move cinRowPtr to next row
s_mul_i32 s54, s[sgprStrideD1J], 4                 // scale stride
_v_add_u32 v3, v3, s54                             // Move coutRowPtr to next row
v_cmp_lt_u32 s[54:55], v0, s[sgprSizeI]            // coord0 < size0
v_cmp_lt_u32 s[58:59], v1, s[sgprSizeJ]            // coord1 < size1
s_and_b64 s[58:59], s[54:55], s[58:59]             // in0 && in1
_v_add_lshl_u32 v6, v3, v0, 0x3                    // scaleToBpe: accumulate d0 lower and *= bpe into Cin addr
v_cndmask_b32 v6, -1, v6, s[58:59]                 // LDD clip if OOB. offset
/* (d1,vc1,d0,vc0)=(18,0,0,1) */
_v_add_co_u32 v4, vcc, v0, 1                       // coord0.1: coord0 += d0*sg0*VW + vc0
v_cmp_lt_u32 s[54:55], v4, s[sgprSizeI]            // coord0 < size0
v_cmp_lt_u32 s[58:59], v1, s[sgprSizeJ]            // coord1 < size1
s_and_b64 s[58:59], s[54:55], s[58:59]             // in0 && in1
_v_add_lshl_u32 v7, v3, v4, 0x3                    // scaleToBpe: accumulate d0 lower and *= bpe into Cin addr
v_cndmask_b32 v7, -1, v7, s[58:59]                 // LDD clip if OOB. offset
/* (d1,vc1,d0,vc0)=(19,0,0,0) */
_v_add_co_u32 v1, vcc, v1, 4                       // coord1.1: coord1Vgpr += d1*sg1*VW + vc1

/* Fix for UseInitialStridesCD, emitAddressSetupCode */
s_mul_i32 s54, s[sgprStrideC1J], 4                 // scale stride
_v_add_u32 v2, v2, s54                             // ROWINC- Move cinRowPtr to next row
s_mul_i32 s54, s[sgprStrideD1J], 4                 // scale stride
_v_add_u32 v3, v3, s54                             // Move coutRowPtr to next row
v_cmp_lt_u32 s[54:55], v0, s[sgprSizeI]            // coord0 < size0
v_cmp_lt_u32 s[58:59], v1, s[sgprSizeJ]            // coord1 < size1
s_and_b64 s[58:59], s[54:55], s[58:59]             // in0 && in1
_v_add_lshl_u32 v12, v3, v0, 0x3                   // scaleToBpe: accumulate d0 lower and *= bpe into Cin addr
v_cndmask_b32 v12, -1, v12, s[58:59]               // LDD clip if OOB. offset
/* (d1,vc1,d0,vc0)=(19,0,0,1) */
_v_add_co_u32 v4, vcc, v0, 1                       // coord0.1: coord0 += d0*sg0*VW + vc0
v_cmp_lt_u32 s[54:55], v4, s[sgprSizeI]            // coord0 < size0
v_cmp_lt_u32 s[58:59], v1, s[sgprSizeJ]            // coord1 < size1
s_and_b64 s[58:59], s[54:55], s[58:59]             // in0 && in1
_v_add_lshl_u32 v13, v3, v4, 0x3                   // scaleToBpe: accumulate d0 lower and *= bpe into Cin addr
v_cndmask_b32 v13, -1, v13, s[58:59]               // LDD clip if OOB. offset
v_accvgpr_read_b32 v[vgprValuC+8], acc68 // copy acc to vreg[72]
v_accvgpr_read_b32 v[vgprValuC+9], acc69 // copy acc to vreg[73]
v_accvgpr_read_b32 v[vgprValuC+10], acc76 // copy acc to vreg[74]
v_accvgpr_read_b32 v[vgprValuC+11], acc77 // copy acc to vreg[75]
v_accvgpr_read_b32 v[vgprValuC+14], acc70 // copy acc to vreg[76]
v_accvgpr_read_b32 v[vgprValuC+15], acc71 // copy acc to vreg[77]
v_accvgpr_read_b32 v[vgprValuC+16], acc78 // copy acc to vreg[78]
v_accvgpr_read_b32 v[vgprValuC+17], acc79 // copy acc to vreg[79]
s_nop 1                                            // 2 wait states required before reading vgpr

/* rC *= alpha batchElements=[(18, 0, 0, 0), (18, 0, 0, 1), (19, 0, 0, 0), (19, 0, 0, 1)] */
v_mul_f64 v[vgprValuC+8:vgprValuC+8+1], s[sgprAlpha:sgprAlpha+1], v[vgprValuC+8:vgprValuC+8+1] // *= alpha
v_mul_f64 v[vgprValuC+10:vgprValuC+10+1], s[sgprAlpha:sgprAlpha+1], v[vgprValuC+10:vgprValuC+10+1] // *= alpha
v_mul_f64 v[vgprValuC+14:vgprValuC+14+1], s[sgprAlpha:sgprAlpha+1], v[vgprValuC+14:vgprValuC+14+1] // *= alpha
v_mul_f64 v[vgprValuC+16:vgprValuC+16+1], s[sgprAlpha:sgprAlpha+1], v[vgprValuC+16:vgprValuC+16+1] // *= alpha

/* apply mask, calc new C and issue writes */
_buffer_store_b64 v[8:9], v6, s[sgprSrdD:sgprSrdD+3], 0, offen, offset:0,  sc0 sc1 // store D
_buffer_store_b64 v[10:11], v7, s[sgprSrdD:sgprSrdD+3], 0, offen, offset:0,  sc0 sc1 // store D
	;; [unrolled: 1-line block ×4, first 2 shown]
s_nop 0                                            // 1 wait state required when next inst writes vgprs held by previous dwordx4 store inst
/* optSingleColVgpr=0 optSharedColVgpr=0 optSGPRUsage=BufferLoad_Edge_Mask optSrdIncForRow=0 */

/******************************************/
/* Global Write Alpha Edge Batch #10 (d1,d0,vc1,vc0) = */
/*    (20,0,0,0:vw1); (20,0,0,1:vw1); (21,0,0,0:vw1); (21,0,0,1:vw1) */
/******************************************/

/* calc coords, apply mask, and issue loads (if necessary) */
/* (d1,vc1,d0,vc0)=(20,0,0,0) */
_v_add_co_u32 v1, vcc, v1, 4                       // coord1.1: coord1Vgpr += d1*sg1*VW + vc1

/* Fix for UseInitialStridesCD, emitAddressSetupCode */
s_mul_i32 s54, s[sgprStrideC1J], 4                 // scale stride
_v_add_u32 v2, v2, s54                             // ROWINC- Move cinRowPtr to next row
s_mul_i32 s54, s[sgprStrideD1J], 4                 // scale stride
_v_add_u32 v3, v3, s54                             // Move coutRowPtr to next row
v_cmp_lt_u32 s[54:55], v0, s[sgprSizeI]            // coord0 < size0
v_cmp_lt_u32 s[58:59], v1, s[sgprSizeJ]            // coord1 < size1
s_and_b64 s[58:59], s[54:55], s[58:59]             // in0 && in1
_v_add_lshl_u32 v6, v3, v0, 0x3                    // scaleToBpe: accumulate d0 lower and *= bpe into Cin addr
v_cndmask_b32 v6, -1, v6, s[58:59]                 // LDD clip if OOB. offset
/* (d1,vc1,d0,vc0)=(20,0,0,1) */
_v_add_co_u32 v4, vcc, v0, 1                       // coord0.1: coord0 += d0*sg0*VW + vc0
v_cmp_lt_u32 s[54:55], v4, s[sgprSizeI]            // coord0 < size0
v_cmp_lt_u32 s[58:59], v1, s[sgprSizeJ]            // coord1 < size1
s_and_b64 s[58:59], s[54:55], s[58:59]             // in0 && in1
_v_add_lshl_u32 v7, v3, v4, 0x3                    // scaleToBpe: accumulate d0 lower and *= bpe into Cin addr
v_cndmask_b32 v7, -1, v7, s[58:59]                 // LDD clip if OOB. offset
/* (d1,vc1,d0,vc0)=(21,0,0,0) */
_v_add_co_u32 v1, vcc, v1, 4                       // coord1.1: coord1Vgpr += d1*sg1*VW + vc1

/* Fix for UseInitialStridesCD, emitAddressSetupCode */
s_mul_i32 s54, s[sgprStrideC1J], 4                 // scale stride
_v_add_u32 v2, v2, s54                             // ROWINC- Move cinRowPtr to next row
s_mul_i32 s54, s[sgprStrideD1J], 4                 // scale stride
_v_add_u32 v3, v3, s54                             // Move coutRowPtr to next row
v_cmp_lt_u32 s[54:55], v0, s[sgprSizeI]            // coord0 < size0
v_cmp_lt_u32 s[58:59], v1, s[sgprSizeJ]            // coord1 < size1
s_and_b64 s[58:59], s[54:55], s[58:59]             // in0 && in1
_v_add_lshl_u32 v12, v3, v0, 0x3                   // scaleToBpe: accumulate d0 lower and *= bpe into Cin addr
v_cndmask_b32 v12, -1, v12, s[58:59]               // LDD clip if OOB. offset
/* (d1,vc1,d0,vc0)=(21,0,0,1) */
_v_add_co_u32 v4, vcc, v0, 1                       // coord0.1: coord0 += d0*sg0*VW + vc0
v_cmp_lt_u32 s[54:55], v4, s[sgprSizeI]            // coord0 < size0
v_cmp_lt_u32 s[58:59], v1, s[sgprSizeJ]            // coord1 < size1
s_and_b64 s[58:59], s[54:55], s[58:59]             // in0 && in1
_v_add_lshl_u32 v13, v3, v4, 0x3                   // scaleToBpe: accumulate d0 lower and *= bpe into Cin addr
v_cndmask_b32 v13, -1, v13, s[58:59]               // LDD clip if OOB. offset
v_accvgpr_read_b32 v[vgprValuC+8], acc80 // copy acc to vreg[80]
v_accvgpr_read_b32 v[vgprValuC+9], acc81 // copy acc to vreg[81]
v_accvgpr_read_b32 v[vgprValuC+10], acc88 // copy acc to vreg[82]
v_accvgpr_read_b32 v[vgprValuC+11], acc89 // copy acc to vreg[83]
v_accvgpr_read_b32 v[vgprValuC+14], acc82 // copy acc to vreg[84]
v_accvgpr_read_b32 v[vgprValuC+15], acc83 // copy acc to vreg[85]
v_accvgpr_read_b32 v[vgprValuC+16], acc90 // copy acc to vreg[86]
v_accvgpr_read_b32 v[vgprValuC+17], acc91 // copy acc to vreg[87]
s_nop 1                                            // 2 wait states required before reading vgpr

/* rC *= alpha batchElements=[(20, 0, 0, 0), (20, 0, 0, 1), (21, 0, 0, 0), (21, 0, 0, 1)] */
v_mul_f64 v[vgprValuC+8:vgprValuC+8+1], s[sgprAlpha:sgprAlpha+1], v[vgprValuC+8:vgprValuC+8+1] // *= alpha
v_mul_f64 v[vgprValuC+10:vgprValuC+10+1], s[sgprAlpha:sgprAlpha+1], v[vgprValuC+10:vgprValuC+10+1] // *= alpha
	;; [unrolled: 1-line block ×4, first 2 shown]

/* apply mask, calc new C and issue writes */
_buffer_store_b64 v[8:9], v6, s[sgprSrdD:sgprSrdD+3], 0, offen, offset:0,  sc0 sc1 // store D
_buffer_store_b64 v[10:11], v7, s[sgprSrdD:sgprSrdD+3], 0, offen, offset:0,  sc0 sc1 // store D
	;; [unrolled: 1-line block ×4, first 2 shown]
s_nop 0                                            // 1 wait state required when next inst writes vgprs held by previous dwordx4 store inst
/* optSingleColVgpr=0 optSharedColVgpr=0 optSGPRUsage=BufferLoad_Edge_Mask optSrdIncForRow=0 */

/******************************************/
/* Global Write Alpha Edge Batch #11 (d1,d0,vc1,vc0) = */
/*    (22,0,0,0:vw1); (22,0,0,1:vw1); (23,0,0,0:vw1); (23,0,0,1:vw1) */
/******************************************/

/* calc coords, apply mask, and issue loads (if necessary) */
/* (d1,vc1,d0,vc0)=(22,0,0,0) */
_v_add_co_u32 v1, vcc, v1, 4                       // coord1.1: coord1Vgpr += d1*sg1*VW + vc1

/* Fix for UseInitialStridesCD, emitAddressSetupCode */
s_mul_i32 s54, s[sgprStrideC1J], 4                 // scale stride
_v_add_u32 v2, v2, s54                             // ROWINC- Move cinRowPtr to next row
s_mul_i32 s54, s[sgprStrideD1J], 4                 // scale stride
_v_add_u32 v3, v3, s54                             // Move coutRowPtr to next row
v_cmp_lt_u32 s[54:55], v0, s[sgprSizeI]            // coord0 < size0
v_cmp_lt_u32 s[58:59], v1, s[sgprSizeJ]            // coord1 < size1
s_and_b64 s[58:59], s[54:55], s[58:59]             // in0 && in1
_v_add_lshl_u32 v6, v3, v0, 0x3                    // scaleToBpe: accumulate d0 lower and *= bpe into Cin addr
v_cndmask_b32 v6, -1, v6, s[58:59]                 // LDD clip if OOB. offset
/* (d1,vc1,d0,vc0)=(22,0,0,1) */
_v_add_co_u32 v4, vcc, v0, 1                       // coord0.1: coord0 += d0*sg0*VW + vc0
v_cmp_lt_u32 s[54:55], v4, s[sgprSizeI]            // coord0 < size0
v_cmp_lt_u32 s[58:59], v1, s[sgprSizeJ]            // coord1 < size1
s_and_b64 s[58:59], s[54:55], s[58:59]             // in0 && in1
_v_add_lshl_u32 v7, v3, v4, 0x3                    // scaleToBpe: accumulate d0 lower and *= bpe into Cin addr
v_cndmask_b32 v7, -1, v7, s[58:59]                 // LDD clip if OOB. offset
/* (d1,vc1,d0,vc0)=(23,0,0,0) */
_v_add_co_u32 v1, vcc, v1, 4                       // coord1.1: coord1Vgpr += d1*sg1*VW + vc1

/* Fix for UseInitialStridesCD, emitAddressSetupCode */
s_mul_i32 s54, s[sgprStrideC1J], 4                 // scale stride
_v_add_u32 v2, v2, s54                             // ROWINC- Move cinRowPtr to next row
s_mul_i32 s54, s[sgprStrideD1J], 4                 // scale stride
_v_add_u32 v3, v3, s54                             // Move coutRowPtr to next row
v_cmp_lt_u32 s[54:55], v0, s[sgprSizeI]            // coord0 < size0
v_cmp_lt_u32 s[58:59], v1, s[sgprSizeJ]            // coord1 < size1
s_and_b64 s[58:59], s[54:55], s[58:59]             // in0 && in1
_v_add_lshl_u32 v12, v3, v0, 0x3                   // scaleToBpe: accumulate d0 lower and *= bpe into Cin addr
v_cndmask_b32 v12, -1, v12, s[58:59]               // LDD clip if OOB. offset
/* (d1,vc1,d0,vc0)=(23,0,0,1) */
_v_add_co_u32 v4, vcc, v0, 1                       // coord0.1: coord0 += d0*sg0*VW + vc0
v_cmp_lt_u32 s[54:55], v4, s[sgprSizeI]            // coord0 < size0
v_cmp_lt_u32 s[58:59], v1, s[sgprSizeJ]            // coord1 < size1
s_and_b64 s[58:59], s[54:55], s[58:59]             // in0 && in1
_v_add_lshl_u32 v13, v3, v4, 0x3                   // scaleToBpe: accumulate d0 lower and *= bpe into Cin addr
v_cndmask_b32 v13, -1, v13, s[58:59]               // LDD clip if OOB. offset
v_accvgpr_read_b32 v[vgprValuC+8], acc84 // copy acc to vreg[88]
v_accvgpr_read_b32 v[vgprValuC+9], acc85 // copy acc to vreg[89]
v_accvgpr_read_b32 v[vgprValuC+10], acc92 // copy acc to vreg[90]
v_accvgpr_read_b32 v[vgprValuC+11], acc93 // copy acc to vreg[91]
v_accvgpr_read_b32 v[vgprValuC+14], acc86 // copy acc to vreg[92]
v_accvgpr_read_b32 v[vgprValuC+15], acc87 // copy acc to vreg[93]
v_accvgpr_read_b32 v[vgprValuC+16], acc94 // copy acc to vreg[94]
v_accvgpr_read_b32 v[vgprValuC+17], acc95 // copy acc to vreg[95]
s_nop 1                                            // 2 wait states required before reading vgpr

/* rC *= alpha batchElements=[(22, 0, 0, 0), (22, 0, 0, 1), (23, 0, 0, 0), (23, 0, 0, 1)] */
v_mul_f64 v[vgprValuC+8:vgprValuC+8+1], s[sgprAlpha:sgprAlpha+1], v[vgprValuC+8:vgprValuC+8+1] // *= alpha
v_mul_f64 v[vgprValuC+10:vgprValuC+10+1], s[sgprAlpha:sgprAlpha+1], v[vgprValuC+10:vgprValuC+10+1] // *= alpha
	;; [unrolled: 1-line block ×4, first 2 shown]

/* apply mask, calc new C and issue writes */
_buffer_store_b64 v[8:9], v6, s[sgprSrdD:sgprSrdD+3], 0, offen, offset:0,  sc0 sc1 // store D
_buffer_store_b64 v[10:11], v7, s[sgprSrdD:sgprSrdD+3], 0, offen, offset:0,  sc0 sc1 // store D
	;; [unrolled: 1-line block ×4, first 2 shown]
s_nop 0                                            // 1 wait state required when next inst writes vgprs held by previous dwordx4 store inst
/* optSingleColVgpr=0 optSharedColVgpr=0 optSGPRUsage=BufferLoad_Edge_Mask optSrdIncForRow=0 */

/******************************************/
/* Global Write Alpha Edge Batch #12 (d1,d0,vc1,vc0) = */
/*    (24,0,0,0:vw1); (24,0,0,1:vw1); (25,0,0,0:vw1); (25,0,0,1:vw1) */
/******************************************/

/* calc coords, apply mask, and issue loads (if necessary) */
/* (d1,vc1,d0,vc0)=(24,0,0,0) */
_v_add_co_u32 v1, vcc, v1, 4                       // coord1.1: coord1Vgpr += d1*sg1*VW + vc1

/* Fix for UseInitialStridesCD, emitAddressSetupCode */
s_mul_i32 s54, s[sgprStrideC1J], 4                 // scale stride
_v_add_u32 v2, v2, s54                             // ROWINC- Move cinRowPtr to next row
s_mul_i32 s54, s[sgprStrideD1J], 4                 // scale stride
_v_add_u32 v3, v3, s54                             // Move coutRowPtr to next row
v_cmp_lt_u32 s[54:55], v0, s[sgprSizeI]            // coord0 < size0
v_cmp_lt_u32 s[58:59], v1, s[sgprSizeJ]            // coord1 < size1
s_and_b64 s[58:59], s[54:55], s[58:59]             // in0 && in1
_v_add_lshl_u32 v6, v3, v0, 0x3                    // scaleToBpe: accumulate d0 lower and *= bpe into Cin addr
v_cndmask_b32 v6, -1, v6, s[58:59]                 // LDD clip if OOB. offset
/* (d1,vc1,d0,vc0)=(24,0,0,1) */
_v_add_co_u32 v4, vcc, v0, 1                       // coord0.1: coord0 += d0*sg0*VW + vc0
v_cmp_lt_u32 s[54:55], v4, s[sgprSizeI]            // coord0 < size0
v_cmp_lt_u32 s[58:59], v1, s[sgprSizeJ]            // coord1 < size1
s_and_b64 s[58:59], s[54:55], s[58:59]             // in0 && in1
_v_add_lshl_u32 v7, v3, v4, 0x3                    // scaleToBpe: accumulate d0 lower and *= bpe into Cin addr
v_cndmask_b32 v7, -1, v7, s[58:59]                 // LDD clip if OOB. offset
/* (d1,vc1,d0,vc0)=(25,0,0,0) */
_v_add_co_u32 v1, vcc, v1, 4                       // coord1.1: coord1Vgpr += d1*sg1*VW + vc1

/* Fix for UseInitialStridesCD, emitAddressSetupCode */
s_mul_i32 s54, s[sgprStrideC1J], 4                 // scale stride
_v_add_u32 v2, v2, s54                             // ROWINC- Move cinRowPtr to next row
s_mul_i32 s54, s[sgprStrideD1J], 4                 // scale stride
_v_add_u32 v3, v3, s54                             // Move coutRowPtr to next row
v_cmp_lt_u32 s[54:55], v0, s[sgprSizeI]            // coord0 < size0
v_cmp_lt_u32 s[58:59], v1, s[sgprSizeJ]            // coord1 < size1
s_and_b64 s[58:59], s[54:55], s[58:59]             // in0 && in1
_v_add_lshl_u32 v12, v3, v0, 0x3                   // scaleToBpe: accumulate d0 lower and *= bpe into Cin addr
v_cndmask_b32 v12, -1, v12, s[58:59]               // LDD clip if OOB. offset
/* (d1,vc1,d0,vc0)=(25,0,0,1) */
_v_add_co_u32 v4, vcc, v0, 1                       // coord0.1: coord0 += d0*sg0*VW + vc0
v_cmp_lt_u32 s[54:55], v4, s[sgprSizeI]            // coord0 < size0
v_cmp_lt_u32 s[58:59], v1, s[sgprSizeJ]            // coord1 < size1
s_and_b64 s[58:59], s[54:55], s[58:59]             // in0 && in1
_v_add_lshl_u32 v13, v3, v4, 0x3                   // scaleToBpe: accumulate d0 lower and *= bpe into Cin addr
v_cndmask_b32 v13, -1, v13, s[58:59]               // LDD clip if OOB. offset
v_accvgpr_read_b32 v[vgprValuC+8], acc96 // copy acc to vreg[96]
v_accvgpr_read_b32 v[vgprValuC+9], acc97 // copy acc to vreg[97]
v_accvgpr_read_b32 v[vgprValuC+10], acc104 // copy acc to vreg[98]
v_accvgpr_read_b32 v[vgprValuC+11], acc105 // copy acc to vreg[99]
v_accvgpr_read_b32 v[vgprValuC+14], acc98 // copy acc to vreg[100]
v_accvgpr_read_b32 v[vgprValuC+15], acc99 // copy acc to vreg[101]
v_accvgpr_read_b32 v[vgprValuC+16], acc106 // copy acc to vreg[102]
v_accvgpr_read_b32 v[vgprValuC+17], acc107 // copy acc to vreg[103]
s_nop 1                                            // 2 wait states required before reading vgpr

/* rC *= alpha batchElements=[(24, 0, 0, 0), (24, 0, 0, 1), (25, 0, 0, 0), (25, 0, 0, 1)] */
v_mul_f64 v[vgprValuC+8:vgprValuC+8+1], s[sgprAlpha:sgprAlpha+1], v[vgprValuC+8:vgprValuC+8+1] // *= alpha
v_mul_f64 v[vgprValuC+10:vgprValuC+10+1], s[sgprAlpha:sgprAlpha+1], v[vgprValuC+10:vgprValuC+10+1] // *= alpha
	;; [unrolled: 1-line block ×4, first 2 shown]

/* apply mask, calc new C and issue writes */
_buffer_store_b64 v[8:9], v6, s[sgprSrdD:sgprSrdD+3], 0, offen, offset:0,  sc0 sc1 // store D
_buffer_store_b64 v[10:11], v7, s[sgprSrdD:sgprSrdD+3], 0, offen, offset:0,  sc0 sc1 // store D
	;; [unrolled: 1-line block ×4, first 2 shown]
s_nop 0                                            // 1 wait state required when next inst writes vgprs held by previous dwordx4 store inst
/* optSingleColVgpr=0 optSharedColVgpr=0 optSGPRUsage=BufferLoad_Edge_Mask optSrdIncForRow=0 */

/******************************************/
/* Global Write Alpha Edge Batch #13 (d1,d0,vc1,vc0) = */
/*    (26,0,0,0:vw1); (26,0,0,1:vw1); (27,0,0,0:vw1); (27,0,0,1:vw1) */
/******************************************/

/* calc coords, apply mask, and issue loads (if necessary) */
/* (d1,vc1,d0,vc0)=(26,0,0,0) */
_v_add_co_u32 v1, vcc, v1, 4                       // coord1.1: coord1Vgpr += d1*sg1*VW + vc1

/* Fix for UseInitialStridesCD, emitAddressSetupCode */
s_mul_i32 s54, s[sgprStrideC1J], 4                 // scale stride
_v_add_u32 v2, v2, s54                             // ROWINC- Move cinRowPtr to next row
s_mul_i32 s54, s[sgprStrideD1J], 4                 // scale stride
_v_add_u32 v3, v3, s54                             // Move coutRowPtr to next row
v_cmp_lt_u32 s[54:55], v0, s[sgprSizeI]            // coord0 < size0
v_cmp_lt_u32 s[58:59], v1, s[sgprSizeJ]            // coord1 < size1
s_and_b64 s[58:59], s[54:55], s[58:59]             // in0 && in1
_v_add_lshl_u32 v6, v3, v0, 0x3                    // scaleToBpe: accumulate d0 lower and *= bpe into Cin addr
v_cndmask_b32 v6, -1, v6, s[58:59]                 // LDD clip if OOB. offset
/* (d1,vc1,d0,vc0)=(26,0,0,1) */
_v_add_co_u32 v4, vcc, v0, 1                       // coord0.1: coord0 += d0*sg0*VW + vc0
v_cmp_lt_u32 s[54:55], v4, s[sgprSizeI]            // coord0 < size0
v_cmp_lt_u32 s[58:59], v1, s[sgprSizeJ]            // coord1 < size1
s_and_b64 s[58:59], s[54:55], s[58:59]             // in0 && in1
_v_add_lshl_u32 v7, v3, v4, 0x3                    // scaleToBpe: accumulate d0 lower and *= bpe into Cin addr
v_cndmask_b32 v7, -1, v7, s[58:59]                 // LDD clip if OOB. offset
/* (d1,vc1,d0,vc0)=(27,0,0,0) */
_v_add_co_u32 v1, vcc, v1, 4                       // coord1.1: coord1Vgpr += d1*sg1*VW + vc1

/* Fix for UseInitialStridesCD, emitAddressSetupCode */
s_mul_i32 s54, s[sgprStrideC1J], 4                 // scale stride
_v_add_u32 v2, v2, s54                             // ROWINC- Move cinRowPtr to next row
s_mul_i32 s54, s[sgprStrideD1J], 4                 // scale stride
_v_add_u32 v3, v3, s54                             // Move coutRowPtr to next row
v_cmp_lt_u32 s[54:55], v0, s[sgprSizeI]            // coord0 < size0
v_cmp_lt_u32 s[58:59], v1, s[sgprSizeJ]            // coord1 < size1
s_and_b64 s[58:59], s[54:55], s[58:59]             // in0 && in1
_v_add_lshl_u32 v12, v3, v0, 0x3                   // scaleToBpe: accumulate d0 lower and *= bpe into Cin addr
v_cndmask_b32 v12, -1, v12, s[58:59]               // LDD clip if OOB. offset
/* (d1,vc1,d0,vc0)=(27,0,0,1) */
_v_add_co_u32 v4, vcc, v0, 1                       // coord0.1: coord0 += d0*sg0*VW + vc0
v_cmp_lt_u32 s[54:55], v4, s[sgprSizeI]            // coord0 < size0
v_cmp_lt_u32 s[58:59], v1, s[sgprSizeJ]            // coord1 < size1
s_and_b64 s[58:59], s[54:55], s[58:59]             // in0 && in1
_v_add_lshl_u32 v13, v3, v4, 0x3                   // scaleToBpe: accumulate d0 lower and *= bpe into Cin addr
v_cndmask_b32 v13, -1, v13, s[58:59]               // LDD clip if OOB. offset
v_accvgpr_read_b32 v[vgprValuC+8], acc100 // copy acc to vreg[104]
v_accvgpr_read_b32 v[vgprValuC+9], acc101 // copy acc to vreg[105]
v_accvgpr_read_b32 v[vgprValuC+10], acc108 // copy acc to vreg[106]
v_accvgpr_read_b32 v[vgprValuC+11], acc109 // copy acc to vreg[107]
v_accvgpr_read_b32 v[vgprValuC+14], acc102 // copy acc to vreg[108]
v_accvgpr_read_b32 v[vgprValuC+15], acc103 // copy acc to vreg[109]
v_accvgpr_read_b32 v[vgprValuC+16], acc110 // copy acc to vreg[110]
v_accvgpr_read_b32 v[vgprValuC+17], acc111 // copy acc to vreg[111]
s_nop 1                                            // 2 wait states required before reading vgpr

/* rC *= alpha batchElements=[(26, 0, 0, 0), (26, 0, 0, 1), (27, 0, 0, 0), (27, 0, 0, 1)] */
v_mul_f64 v[vgprValuC+8:vgprValuC+8+1], s[sgprAlpha:sgprAlpha+1], v[vgprValuC+8:vgprValuC+8+1] // *= alpha
v_mul_f64 v[vgprValuC+10:vgprValuC+10+1], s[sgprAlpha:sgprAlpha+1], v[vgprValuC+10:vgprValuC+10+1] // *= alpha
	;; [unrolled: 1-line block ×4, first 2 shown]

/* apply mask, calc new C and issue writes */
_buffer_store_b64 v[8:9], v6, s[sgprSrdD:sgprSrdD+3], 0, offen, offset:0,  sc0 sc1 // store D
_buffer_store_b64 v[10:11], v7, s[sgprSrdD:sgprSrdD+3], 0, offen, offset:0,  sc0 sc1 // store D
_buffer_store_b64 v[14:15], v12, s[sgprSrdD:sgprSrdD+3], 0, offen, offset:0,  sc0 sc1 // store D
_buffer_store_b64 v[16:17], v13, s[sgprSrdD:sgprSrdD+3], 0, offen, offset:0,  sc0 sc1 // store D
s_nop 0                                            // 1 wait state required when next inst writes vgprs held by previous dwordx4 store inst
s_branch label_GW_End_44                           // jump to end
GW_Beta_45:
s_and_b32 s32, 127, s[sgprSizeI]                   // s32 = s[sgprSizeI] % 128
s_add_u32 s33, -0x1, s[sgprNumWorkGroups0]         // 
s_cmp_ge_u32 s[sgprWorkGroup0], s33                // wg0 >= nwg0-1 ?
s_cselect_b32 s32, s32, 0                          // set rMT0
s_cmpk_gt_u32 s32, 0x0                             // rMT0 > 0
s_cbranch_scc1 GW_B1_E1_43                         // jump if edges required
s_mov_b32 s35, 0x0                                 // STATIC_DIV: divisior=112
s_mul_i32 s34, 0x492, s[sgprSizeJ]                 // tmp1 = dividend * magic hi
s_lshl_b64 s[34:35], s[34:35], 0x10                // left shift 16 bits
s_mul_i32 s33, s[sgprSizeJ], 0x4925                // tmp0 = dividend * magic lo
s_add_u32 s34, s33, s34                            // add lo
s_addc_u32 s35, s35, 0x0                           // add hi
s_lshr_b64 s[34:35], s[34:35], 0x21                // tmp1 = (dividend * magic) << shift
s_mov_b32 s33, s34                                 // quotient
s_mul_i32 s34, s33, 0x70                           // quotient*divisor
s_sub_u32 s32, s[sgprSizeJ], s34                   // rReg = dividend - quotient*divisor
s_add_u32 s33, -0x1, s[sgprNumWorkGroups1]         // 
s_cmp_ge_u32 s[sgprWorkGroup1], s33                // wg1 >= nwg1-1
s_cselect_b32 s32, s32, 0                          // set rMT1
s_cmpk_gt_u32 s32, 0x0                             // rMT1 > 0
s_cbranch_scc1 GW_B1_E1_43                         // jump if edges required
GW_B1_E0_40:

/* edge=0, allocate 2 sgpr. perBatchTmpS=2 perBatchMaskS=0 perElementMaskS=0 elementsPerBatch=4 */
/* optSingleColVgpr=1 optSharedColVgpr=0 optSGPRUsage=BufferLoad_Mask optSrdIncForRow=1 */

/******************************************/
/* Global Write Alpha Beta Batch #0 (d1,d0,vc1,vc0) = */
/*    (0,0,0,0:vw2); (1,0,0,0:vw2); (2,0,0,0:vw2); (3,0,0,0:vw2) */
/******************************************/

/* calc coords, apply mask, and issue loads (if necessary) */
/* (d1,vc1,d0,vc0)=(0,0,0,0) */
_v_add_lshl_u32 v7, v2, v0, 0x3                    // optSingleColVgpr scaleToBpe: sharedAddrVgpr <- cinRowPtr + coord0, scaled by BPE. BSHERE:coord0=0, coord0Vgpr=0
_buffer_load_b128 v[8:11], v7, s[sgprSrdC:sgprSrdC+3], 0, offen offset:0,  sc0 sc1 // load C for beta calc
/* (d1,vc1,d0,vc0)=(1,0,0,0) */
s_mul_i32 s32, s[sgprStrideC1J], 32                // scale StrideC *= numRows(4) * bpe
s_add_u32  s[sgprSrdC+0], s[sgprSrdC+0], s32       // incToNextRow: gra SRD += inc(lower)
s_addc_u32  s[sgprSrdC+1], s[sgprSrdC+1], 0        // incToNextRow: gra SRD += inc(upper)
_buffer_load_b128 v[16:19], v7, s[sgprSrdC:sgprSrdC+3], 0, offen offset:0,  sc0 sc1 // load C for beta calc
/* (d1,vc1,d0,vc0)=(2,0,0,0) */
s_mul_i32 s32, s[sgprStrideC1J], 32                // scale StrideC *= numRows(4) * bpe
s_add_u32  s[sgprSrdC+0], s[sgprSrdC+0], s32       // incToNextRow: gra SRD += inc(lower)
s_addc_u32  s[sgprSrdC+1], s[sgprSrdC+1], 0        // incToNextRow: gra SRD += inc(upper)
	;; [unrolled: 5-line block ×3, first 2 shown]
_buffer_load_b128 v[32:35], v7, s[sgprSrdC:sgprSrdC+3], 0, offen offset:0,  sc0 sc1 // load C for beta calc
_v_add_lshl_u32 v6, v3, v0, 0x3                    // optSingleColVgpr scaleToBpe: sharedAddrVgpr <- cinRowPtr + coord0, scaled by BPE. BSHERE:coord0=0, coord0Vgpr=0
v_accvgpr_read_b32 v[vgprValuC+12], acc0 // copy acc to vreg[0]
v_accvgpr_read_b32 v[vgprValuC+13], acc1 // copy acc to vreg[1]
v_accvgpr_read_b32 v[vgprValuC+14], acc8 // copy acc to vreg[2]
v_accvgpr_read_b32 v[vgprValuC+15], acc9 // copy acc to vreg[3]
v_accvgpr_read_b32 v[vgprValuC+20], acc2 // copy acc to vreg[4]
v_accvgpr_read_b32 v[vgprValuC+21], acc3 // copy acc to vreg[5]
v_accvgpr_read_b32 v[vgprValuC+22], acc10 // copy acc to vreg[6]
v_accvgpr_read_b32 v[vgprValuC+23], acc11 // copy acc to vreg[7]
v_accvgpr_read_b32 v[vgprValuC+28], acc4 // copy acc to vreg[8]
v_accvgpr_read_b32 v[vgprValuC+29], acc5 // copy acc to vreg[9]
v_accvgpr_read_b32 v[vgprValuC+30], acc12 // copy acc to vreg[10]
v_accvgpr_read_b32 v[vgprValuC+31], acc13 // copy acc to vreg[11]
v_accvgpr_read_b32 v[vgprValuC+36], acc6 // copy acc to vreg[12]
v_accvgpr_read_b32 v[vgprValuC+37], acc7 // copy acc to vreg[13]
v_accvgpr_read_b32 v[vgprValuC+38], acc14 // copy acc to vreg[14]
v_accvgpr_read_b32 v[vgprValuC+39], acc15 // copy acc to vreg[15]
s_nop 1                                            // 2 wait states required before reading vgpr

/* rC *= alpha batchElements=[(0, 0, 0, 0), (1, 0, 0, 0), (2, 0, 0, 0), (3, 0, 0, 0)] */
v_mul_f64 v[vgprValuC+12:vgprValuC+12+1], s[sgprAlpha:sgprAlpha+1], v[vgprValuC+12:vgprValuC+12+1] // *= alpha
v_mul_f64 v[vgprValuC+14:vgprValuC+14+1], s[sgprAlpha:sgprAlpha+1], v[vgprValuC+14:vgprValuC+14+1] // *= alpha
	;; [unrolled: 1-line block ×8, first 2 shown]

/* apply mask, calc new C and issue writes */

s_waitcnt vmcnt(3)                                 // wait C (interleaved) 3 = 4 - 0 + 0 - 1
v_fma_f64 v[vgprValuC+12:vgprValuC+12+1], v[8:9], s[sgprBeta:sgprBeta+1], v[vgprValuC+12:vgprValuC+12+1] // finalSum = sum*alpha + C*beta
v_fma_f64 v[vgprValuC+14:vgprValuC+14+1], v[10:11], s[sgprBeta:sgprBeta+1], v[vgprValuC+14:vgprValuC+14+1] // finalSum = sum*alpha + C*beta
_buffer_store_b128 v[12:15], v6, s[sgprSrdD:sgprSrdD+3], 0, offen, offset:0,  sc0 sc1 // store D

s_waitcnt vmcnt(3)                                 // wait C (interleaved) 3 = 4 - 1 + 1 - 1
v_fma_f64 v[vgprValuC+20:vgprValuC+20+1], v[16:17], s[sgprBeta:sgprBeta+1], v[vgprValuC+20:vgprValuC+20+1] // finalSum = sum*alpha + C*beta
v_fma_f64 v[vgprValuC+22:vgprValuC+22+1], v[18:19], s[sgprBeta:sgprBeta+1], v[vgprValuC+22:vgprValuC+22+1] // finalSum = sum*alpha + C*beta
s_mul_i32 s32, s[sgprStrideD1J], 32                // scale StrideD *= numRows(4) * bpe
s_add_u32  s[sgprSrdD+0], s[sgprSrdD+0], s32       // incToNextRow: gra SRD += inc(lower)
s_addc_u32  s[sgprSrdD+1], s[sgprSrdD+1], 0        // incToNextRow: gra SRD += inc(upper)
_buffer_store_b128 v[20:23], v6, s[sgprSrdD:sgprSrdD+3], 0, offen, offset:0,  sc0 sc1 // store D

s_waitcnt vmcnt(3)                                 // wait C (interleaved) 3 = 4 - 2 + 2 - 1
v_fma_f64 v[vgprValuC+28:vgprValuC+28+1], v[24:25], s[sgprBeta:sgprBeta+1], v[vgprValuC+28:vgprValuC+28+1] // finalSum = sum*alpha + C*beta
v_fma_f64 v[vgprValuC+30:vgprValuC+30+1], v[26:27], s[sgprBeta:sgprBeta+1], v[vgprValuC+30:vgprValuC+30+1] // finalSum = sum*alpha + C*beta
s_mul_i32 s32, s[sgprStrideD1J], 32                // scale StrideD *= numRows(4) * bpe
s_add_u32  s[sgprSrdD+0], s[sgprSrdD+0], s32       // incToNextRow: gra SRD += inc(lower)
s_addc_u32  s[sgprSrdD+1], s[sgprSrdD+1], 0        // incToNextRow: gra SRD += inc(upper)
	;; [unrolled: 8-line block ×3, first 2 shown]
_buffer_store_b128 v[36:39], v6, s[sgprSrdD:sgprSrdD+3], 0, offen, offset:0,  sc0 sc1 // store D
s_nop 0                                            // 1 wait state required when next inst writes vgprs held by previous dwordx4 store inst
/* optSingleColVgpr=1 optSharedColVgpr=0 optSGPRUsage=BufferLoad_Mask optSrdIncForRow=1 */

/******************************************/
/* Global Write Alpha Beta Batch #1 (d1,d0,vc1,vc0) = */
/*    (4,0,0,0:vw2); (5,0,0,0:vw2); (6,0,0,0:vw2); (7,0,0,0:vw2) */
/******************************************/

/* calc coords, apply mask, and issue loads (if necessary) */
/* (d1,vc1,d0,vc0)=(4,0,0,0) */
s_mul_i32 s32, s[sgprStrideC1J], 32                // scale StrideC *= numRows(4) * bpe
s_add_u32  s[sgprSrdC+0], s[sgprSrdC+0], s32       // incToNextRow: gra SRD += inc(lower)
s_addc_u32  s[sgprSrdC+1], s[sgprSrdC+1], 0        // incToNextRow: gra SRD += inc(upper)
_buffer_load_b128 v[8:11], v7, s[sgprSrdC:sgprSrdC+3], 0, offen offset:0,  sc0 sc1 // load C for beta calc
/* (d1,vc1,d0,vc0)=(5,0,0,0) */
s_mul_i32 s32, s[sgprStrideC1J], 32                // scale StrideC *= numRows(4) * bpe
s_add_u32  s[sgprSrdC+0], s[sgprSrdC+0], s32       // incToNextRow: gra SRD += inc(lower)
s_addc_u32  s[sgprSrdC+1], s[sgprSrdC+1], 0        // incToNextRow: gra SRD += inc(upper)
_buffer_load_b128 v[16:19], v7, s[sgprSrdC:sgprSrdC+3], 0, offen offset:0,  sc0 sc1 // load C for beta calc
	;; [unrolled: 5-line block ×4, first 2 shown]
v_accvgpr_read_b32 v[vgprValuC+12], acc16 // copy acc to vreg[16]
v_accvgpr_read_b32 v[vgprValuC+13], acc17 // copy acc to vreg[17]
v_accvgpr_read_b32 v[vgprValuC+14], acc24 // copy acc to vreg[18]
v_accvgpr_read_b32 v[vgprValuC+15], acc25 // copy acc to vreg[19]
v_accvgpr_read_b32 v[vgprValuC+20], acc18 // copy acc to vreg[20]
v_accvgpr_read_b32 v[vgprValuC+21], acc19 // copy acc to vreg[21]
v_accvgpr_read_b32 v[vgprValuC+22], acc26 // copy acc to vreg[22]
v_accvgpr_read_b32 v[vgprValuC+23], acc27 // copy acc to vreg[23]
v_accvgpr_read_b32 v[vgprValuC+28], acc20 // copy acc to vreg[24]
v_accvgpr_read_b32 v[vgprValuC+29], acc21 // copy acc to vreg[25]
v_accvgpr_read_b32 v[vgprValuC+30], acc28 // copy acc to vreg[26]
v_accvgpr_read_b32 v[vgprValuC+31], acc29 // copy acc to vreg[27]
v_accvgpr_read_b32 v[vgprValuC+36], acc22 // copy acc to vreg[28]
v_accvgpr_read_b32 v[vgprValuC+37], acc23 // copy acc to vreg[29]
v_accvgpr_read_b32 v[vgprValuC+38], acc30 // copy acc to vreg[30]
v_accvgpr_read_b32 v[vgprValuC+39], acc31 // copy acc to vreg[31]
s_nop 1                                            // 2 wait states required before reading vgpr

/* rC *= alpha batchElements=[(4, 0, 0, 0), (5, 0, 0, 0), (6, 0, 0, 0), (7, 0, 0, 0)] */
v_mul_f64 v[vgprValuC+12:vgprValuC+12+1], s[sgprAlpha:sgprAlpha+1], v[vgprValuC+12:vgprValuC+12+1] // *= alpha
v_mul_f64 v[vgprValuC+14:vgprValuC+14+1], s[sgprAlpha:sgprAlpha+1], v[vgprValuC+14:vgprValuC+14+1] // *= alpha
	;; [unrolled: 1-line block ×8, first 2 shown]

/* apply mask, calc new C and issue writes */

s_waitcnt vmcnt(3)                                 // wait C (interleaved) 3 = 4 - 0 + 0 - 1
v_fma_f64 v[vgprValuC+12:vgprValuC+12+1], v[8:9], s[sgprBeta:sgprBeta+1], v[vgprValuC+12:vgprValuC+12+1] // finalSum = sum*alpha + C*beta
v_fma_f64 v[vgprValuC+14:vgprValuC+14+1], v[10:11], s[sgprBeta:sgprBeta+1], v[vgprValuC+14:vgprValuC+14+1] // finalSum = sum*alpha + C*beta
s_mul_i32 s32, s[sgprStrideD1J], 32                // scale StrideD *= numRows(4) * bpe
s_add_u32  s[sgprSrdD+0], s[sgprSrdD+0], s32       // incToNextRow: gra SRD += inc(lower)
s_addc_u32  s[sgprSrdD+1], s[sgprSrdD+1], 0        // incToNextRow: gra SRD += inc(upper)
_buffer_store_b128 v[12:15], v6, s[sgprSrdD:sgprSrdD+3], 0, offen, offset:0,  sc0 sc1 // store D

s_waitcnt vmcnt(3)                                 // wait C (interleaved) 3 = 4 - 1 + 1 - 1
v_fma_f64 v[vgprValuC+20:vgprValuC+20+1], v[16:17], s[sgprBeta:sgprBeta+1], v[vgprValuC+20:vgprValuC+20+1] // finalSum = sum*alpha + C*beta
v_fma_f64 v[vgprValuC+22:vgprValuC+22+1], v[18:19], s[sgprBeta:sgprBeta+1], v[vgprValuC+22:vgprValuC+22+1] // finalSum = sum*alpha + C*beta
s_mul_i32 s32, s[sgprStrideD1J], 32                // scale StrideD *= numRows(4) * bpe
s_add_u32  s[sgprSrdD+0], s[sgprSrdD+0], s32       // incToNextRow: gra SRD += inc(lower)
s_addc_u32  s[sgprSrdD+1], s[sgprSrdD+1], 0        // incToNextRow: gra SRD += inc(upper)
_buffer_store_b128 v[20:23], v6, s[sgprSrdD:sgprSrdD+3], 0, offen, offset:0,  sc0 sc1 // store D

s_waitcnt vmcnt(3)                                 // wait C (interleaved) 3 = 4 - 2 + 2 - 1
v_fma_f64 v[vgprValuC+28:vgprValuC+28+1], v[24:25], s[sgprBeta:sgprBeta+1], v[vgprValuC+28:vgprValuC+28+1] // finalSum = sum*alpha + C*beta
v_fma_f64 v[vgprValuC+30:vgprValuC+30+1], v[26:27], s[sgprBeta:sgprBeta+1], v[vgprValuC+30:vgprValuC+30+1] // finalSum = sum*alpha + C*beta
s_mul_i32 s32, s[sgprStrideD1J], 32                // scale StrideD *= numRows(4) * bpe
s_add_u32  s[sgprSrdD+0], s[sgprSrdD+0], s32       // incToNextRow: gra SRD += inc(lower)
s_addc_u32  s[sgprSrdD+1], s[sgprSrdD+1], 0        // incToNextRow: gra SRD += inc(upper)
_buffer_store_b128 v[28:31], v6, s[sgprSrdD:sgprSrdD+3], 0, offen, offset:0,  sc0 sc1 // store D

s_waitcnt vmcnt(3)                                 // wait C (interleaved) 3 = 4 - 3 + 3 - 1
v_fma_f64 v[vgprValuC+36:vgprValuC+36+1], v[32:33], s[sgprBeta:sgprBeta+1], v[vgprValuC+36:vgprValuC+36+1] // finalSum = sum*alpha + C*beta
v_fma_f64 v[vgprValuC+38:vgprValuC+38+1], v[34:35], s[sgprBeta:sgprBeta+1], v[vgprValuC+38:vgprValuC+38+1] // finalSum = sum*alpha + C*beta
s_mul_i32 s32, s[sgprStrideD1J], 32                // scale StrideD *= numRows(4) * bpe
s_add_u32  s[sgprSrdD+0], s[sgprSrdD+0], s32       // incToNextRow: gra SRD += inc(lower)
s_addc_u32  s[sgprSrdD+1], s[sgprSrdD+1], 0        // incToNextRow: gra SRD += inc(upper)
_buffer_store_b128 v[36:39], v6, s[sgprSrdD:sgprSrdD+3], 0, offen, offset:0,  sc0 sc1 // store D
s_nop 0                                            // 1 wait state required when next inst writes vgprs held by previous dwordx4 store inst
/* optSingleColVgpr=1 optSharedColVgpr=0 optSGPRUsage=BufferLoad_Mask optSrdIncForRow=1 */

/******************************************/
/* Global Write Alpha Beta Batch #2 (d1,d0,vc1,vc0) = */
/*    (8,0,0,0:vw2); (9,0,0,0:vw2); (10,0,0,0:vw2); (11,0,0,0:vw2) */
/******************************************/

/* calc coords, apply mask, and issue loads (if necessary) */
/* (d1,vc1,d0,vc0)=(8,0,0,0) */
s_mul_i32 s32, s[sgprStrideC1J], 32                // scale StrideC *= numRows(4) * bpe
s_add_u32  s[sgprSrdC+0], s[sgprSrdC+0], s32       // incToNextRow: gra SRD += inc(lower)
s_addc_u32  s[sgprSrdC+1], s[sgprSrdC+1], 0        // incToNextRow: gra SRD += inc(upper)
_buffer_load_b128 v[8:11], v7, s[sgprSrdC:sgprSrdC+3], 0, offen offset:0,  sc0 sc1 // load C for beta calc
/* (d1,vc1,d0,vc0)=(9,0,0,0) */
s_mul_i32 s32, s[sgprStrideC1J], 32                // scale StrideC *= numRows(4) * bpe
s_add_u32  s[sgprSrdC+0], s[sgprSrdC+0], s32       // incToNextRow: gra SRD += inc(lower)
s_addc_u32  s[sgprSrdC+1], s[sgprSrdC+1], 0        // incToNextRow: gra SRD += inc(upper)
_buffer_load_b128 v[16:19], v7, s[sgprSrdC:sgprSrdC+3], 0, offen offset:0,  sc0 sc1 // load C for beta calc
	;; [unrolled: 5-line block ×4, first 2 shown]
v_accvgpr_read_b32 v[vgprValuC+12], acc32 // copy acc to vreg[32]
v_accvgpr_read_b32 v[vgprValuC+13], acc33 // copy acc to vreg[33]
v_accvgpr_read_b32 v[vgprValuC+14], acc40 // copy acc to vreg[34]
v_accvgpr_read_b32 v[vgprValuC+15], acc41 // copy acc to vreg[35]
v_accvgpr_read_b32 v[vgprValuC+20], acc34 // copy acc to vreg[36]
v_accvgpr_read_b32 v[vgprValuC+21], acc35 // copy acc to vreg[37]
v_accvgpr_read_b32 v[vgprValuC+22], acc42 // copy acc to vreg[38]
v_accvgpr_read_b32 v[vgprValuC+23], acc43 // copy acc to vreg[39]
v_accvgpr_read_b32 v[vgprValuC+28], acc36 // copy acc to vreg[40]
v_accvgpr_read_b32 v[vgprValuC+29], acc37 // copy acc to vreg[41]
v_accvgpr_read_b32 v[vgprValuC+30], acc44 // copy acc to vreg[42]
v_accvgpr_read_b32 v[vgprValuC+31], acc45 // copy acc to vreg[43]
v_accvgpr_read_b32 v[vgprValuC+36], acc38 // copy acc to vreg[44]
v_accvgpr_read_b32 v[vgprValuC+37], acc39 // copy acc to vreg[45]
v_accvgpr_read_b32 v[vgprValuC+38], acc46 // copy acc to vreg[46]
v_accvgpr_read_b32 v[vgprValuC+39], acc47 // copy acc to vreg[47]
s_nop 1                                            // 2 wait states required before reading vgpr

/* rC *= alpha batchElements=[(8, 0, 0, 0), (9, 0, 0, 0), (10, 0, 0, 0), (11, 0, 0, 0)] */
v_mul_f64 v[vgprValuC+12:vgprValuC+12+1], s[sgprAlpha:sgprAlpha+1], v[vgprValuC+12:vgprValuC+12+1] // *= alpha
v_mul_f64 v[vgprValuC+14:vgprValuC+14+1], s[sgprAlpha:sgprAlpha+1], v[vgprValuC+14:vgprValuC+14+1] // *= alpha
	;; [unrolled: 1-line block ×8, first 2 shown]

/* apply mask, calc new C and issue writes */

s_waitcnt vmcnt(3)                                 // wait C (interleaved) 3 = 4 - 0 + 0 - 1
v_fma_f64 v[vgprValuC+12:vgprValuC+12+1], v[8:9], s[sgprBeta:sgprBeta+1], v[vgprValuC+12:vgprValuC+12+1] // finalSum = sum*alpha + C*beta
v_fma_f64 v[vgprValuC+14:vgprValuC+14+1], v[10:11], s[sgprBeta:sgprBeta+1], v[vgprValuC+14:vgprValuC+14+1] // finalSum = sum*alpha + C*beta
s_mul_i32 s32, s[sgprStrideD1J], 32                // scale StrideD *= numRows(4) * bpe
s_add_u32  s[sgprSrdD+0], s[sgprSrdD+0], s32       // incToNextRow: gra SRD += inc(lower)
s_addc_u32  s[sgprSrdD+1], s[sgprSrdD+1], 0        // incToNextRow: gra SRD += inc(upper)
_buffer_store_b128 v[12:15], v6, s[sgprSrdD:sgprSrdD+3], 0, offen, offset:0,  sc0 sc1 // store D

s_waitcnt vmcnt(3)                                 // wait C (interleaved) 3 = 4 - 1 + 1 - 1
v_fma_f64 v[vgprValuC+20:vgprValuC+20+1], v[16:17], s[sgprBeta:sgprBeta+1], v[vgprValuC+20:vgprValuC+20+1] // finalSum = sum*alpha + C*beta
v_fma_f64 v[vgprValuC+22:vgprValuC+22+1], v[18:19], s[sgprBeta:sgprBeta+1], v[vgprValuC+22:vgprValuC+22+1] // finalSum = sum*alpha + C*beta
s_mul_i32 s32, s[sgprStrideD1J], 32                // scale StrideD *= numRows(4) * bpe
s_add_u32  s[sgprSrdD+0], s[sgprSrdD+0], s32       // incToNextRow: gra SRD += inc(lower)
s_addc_u32  s[sgprSrdD+1], s[sgprSrdD+1], 0        // incToNextRow: gra SRD += inc(upper)
_buffer_store_b128 v[20:23], v6, s[sgprSrdD:sgprSrdD+3], 0, offen, offset:0,  sc0 sc1 // store D
	;; [unrolled: 8-line block ×4, first 2 shown]
s_nop 0                                            // 1 wait state required when next inst writes vgprs held by previous dwordx4 store inst
/* optSingleColVgpr=1 optSharedColVgpr=0 optSGPRUsage=BufferLoad_Mask optSrdIncForRow=1 */

/******************************************/
/* Global Write Alpha Beta Batch #3 (d1,d0,vc1,vc0) = */
/*    (12,0,0,0:vw2); (13,0,0,0:vw2); (14,0,0,0:vw2); (15,0,0,0:vw2) */
/******************************************/

/* calc coords, apply mask, and issue loads (if necessary) */
/* (d1,vc1,d0,vc0)=(12,0,0,0) */
s_mul_i32 s32, s[sgprStrideC1J], 32                // scale StrideC *= numRows(4) * bpe
s_add_u32  s[sgprSrdC+0], s[sgprSrdC+0], s32       // incToNextRow: gra SRD += inc(lower)
s_addc_u32  s[sgprSrdC+1], s[sgprSrdC+1], 0        // incToNextRow: gra SRD += inc(upper)
_buffer_load_b128 v[8:11], v7, s[sgprSrdC:sgprSrdC+3], 0, offen offset:0,  sc0 sc1 // load C for beta calc
/* (d1,vc1,d0,vc0)=(13,0,0,0) */
s_mul_i32 s32, s[sgprStrideC1J], 32                // scale StrideC *= numRows(4) * bpe
s_add_u32  s[sgprSrdC+0], s[sgprSrdC+0], s32       // incToNextRow: gra SRD += inc(lower)
s_addc_u32  s[sgprSrdC+1], s[sgprSrdC+1], 0        // incToNextRow: gra SRD += inc(upper)
_buffer_load_b128 v[16:19], v7, s[sgprSrdC:sgprSrdC+3], 0, offen offset:0,  sc0 sc1 // load C for beta calc
	;; [unrolled: 5-line block ×4, first 2 shown]
v_accvgpr_read_b32 v[vgprValuC+12], acc48 // copy acc to vreg[48]
v_accvgpr_read_b32 v[vgprValuC+13], acc49 // copy acc to vreg[49]
v_accvgpr_read_b32 v[vgprValuC+14], acc56 // copy acc to vreg[50]
v_accvgpr_read_b32 v[vgprValuC+15], acc57 // copy acc to vreg[51]
v_accvgpr_read_b32 v[vgprValuC+20], acc50 // copy acc to vreg[52]
v_accvgpr_read_b32 v[vgprValuC+21], acc51 // copy acc to vreg[53]
v_accvgpr_read_b32 v[vgprValuC+22], acc58 // copy acc to vreg[54]
v_accvgpr_read_b32 v[vgprValuC+23], acc59 // copy acc to vreg[55]
v_accvgpr_read_b32 v[vgprValuC+28], acc52 // copy acc to vreg[56]
v_accvgpr_read_b32 v[vgprValuC+29], acc53 // copy acc to vreg[57]
v_accvgpr_read_b32 v[vgprValuC+30], acc60 // copy acc to vreg[58]
v_accvgpr_read_b32 v[vgprValuC+31], acc61 // copy acc to vreg[59]
v_accvgpr_read_b32 v[vgprValuC+36], acc54 // copy acc to vreg[60]
v_accvgpr_read_b32 v[vgprValuC+37], acc55 // copy acc to vreg[61]
v_accvgpr_read_b32 v[vgprValuC+38], acc62 // copy acc to vreg[62]
v_accvgpr_read_b32 v[vgprValuC+39], acc63 // copy acc to vreg[63]
s_nop 1                                            // 2 wait states required before reading vgpr

/* rC *= alpha batchElements=[(12, 0, 0, 0), (13, 0, 0, 0), (14, 0, 0, 0), (15, 0, 0, 0)] */
v_mul_f64 v[vgprValuC+12:vgprValuC+12+1], s[sgprAlpha:sgprAlpha+1], v[vgprValuC+12:vgprValuC+12+1] // *= alpha
v_mul_f64 v[vgprValuC+14:vgprValuC+14+1], s[sgprAlpha:sgprAlpha+1], v[vgprValuC+14:vgprValuC+14+1] // *= alpha
v_mul_f64 v[vgprValuC+20:vgprValuC+20+1], s[sgprAlpha:sgprAlpha+1], v[vgprValuC+20:vgprValuC+20+1] // *= alpha
v_mul_f64 v[vgprValuC+22:vgprValuC+22+1], s[sgprAlpha:sgprAlpha+1], v[vgprValuC+22:vgprValuC+22+1] // *= alpha
v_mul_f64 v[vgprValuC+28:vgprValuC+28+1], s[sgprAlpha:sgprAlpha+1], v[vgprValuC+28:vgprValuC+28+1] // *= alpha
v_mul_f64 v[vgprValuC+30:vgprValuC+30+1], s[sgprAlpha:sgprAlpha+1], v[vgprValuC+30:vgprValuC+30+1] // *= alpha
v_mul_f64 v[vgprValuC+36:vgprValuC+36+1], s[sgprAlpha:sgprAlpha+1], v[vgprValuC+36:vgprValuC+36+1] // *= alpha
v_mul_f64 v[vgprValuC+38:vgprValuC+38+1], s[sgprAlpha:sgprAlpha+1], v[vgprValuC+38:vgprValuC+38+1] // *= alpha

/* apply mask, calc new C and issue writes */

s_waitcnt vmcnt(3)                                 // wait C (interleaved) 3 = 4 - 0 + 0 - 1
v_fma_f64 v[vgprValuC+12:vgprValuC+12+1], v[8:9], s[sgprBeta:sgprBeta+1], v[vgprValuC+12:vgprValuC+12+1] // finalSum = sum*alpha + C*beta
v_fma_f64 v[vgprValuC+14:vgprValuC+14+1], v[10:11], s[sgprBeta:sgprBeta+1], v[vgprValuC+14:vgprValuC+14+1] // finalSum = sum*alpha + C*beta
s_mul_i32 s32, s[sgprStrideD1J], 32                // scale StrideD *= numRows(4) * bpe
s_add_u32  s[sgprSrdD+0], s[sgprSrdD+0], s32       // incToNextRow: gra SRD += inc(lower)
s_addc_u32  s[sgprSrdD+1], s[sgprSrdD+1], 0        // incToNextRow: gra SRD += inc(upper)
_buffer_store_b128 v[12:15], v6, s[sgprSrdD:sgprSrdD+3], 0, offen, offset:0,  sc0 sc1 // store D

s_waitcnt vmcnt(3)                                 // wait C (interleaved) 3 = 4 - 1 + 1 - 1
v_fma_f64 v[vgprValuC+20:vgprValuC+20+1], v[16:17], s[sgprBeta:sgprBeta+1], v[vgprValuC+20:vgprValuC+20+1] // finalSum = sum*alpha + C*beta
v_fma_f64 v[vgprValuC+22:vgprValuC+22+1], v[18:19], s[sgprBeta:sgprBeta+1], v[vgprValuC+22:vgprValuC+22+1] // finalSum = sum*alpha + C*beta
s_mul_i32 s32, s[sgprStrideD1J], 32                // scale StrideD *= numRows(4) * bpe
s_add_u32  s[sgprSrdD+0], s[sgprSrdD+0], s32       // incToNextRow: gra SRD += inc(lower)
s_addc_u32  s[sgprSrdD+1], s[sgprSrdD+1], 0        // incToNextRow: gra SRD += inc(upper)
_buffer_store_b128 v[20:23], v6, s[sgprSrdD:sgprSrdD+3], 0, offen, offset:0,  sc0 sc1 // store D
	;; [unrolled: 8-line block ×4, first 2 shown]
s_nop 0                                            // 1 wait state required when next inst writes vgprs held by previous dwordx4 store inst
/* optSingleColVgpr=1 optSharedColVgpr=0 optSGPRUsage=BufferLoad_Mask optSrdIncForRow=1 */

/******************************************/
/* Global Write Alpha Beta Batch #4 (d1,d0,vc1,vc0) = */
/*    (16,0,0,0:vw2); (17,0,0,0:vw2); (18,0,0,0:vw2); (19,0,0,0:vw2) */
/******************************************/

/* calc coords, apply mask, and issue loads (if necessary) */
/* (d1,vc1,d0,vc0)=(16,0,0,0) */
s_mul_i32 s32, s[sgprStrideC1J], 32                // scale StrideC *= numRows(4) * bpe
s_add_u32  s[sgprSrdC+0], s[sgprSrdC+0], s32       // incToNextRow: gra SRD += inc(lower)
s_addc_u32  s[sgprSrdC+1], s[sgprSrdC+1], 0        // incToNextRow: gra SRD += inc(upper)
_buffer_load_b128 v[8:11], v7, s[sgprSrdC:sgprSrdC+3], 0, offen offset:0,  sc0 sc1 // load C for beta calc
/* (d1,vc1,d0,vc0)=(17,0,0,0) */
s_mul_i32 s32, s[sgprStrideC1J], 32                // scale StrideC *= numRows(4) * bpe
s_add_u32  s[sgprSrdC+0], s[sgprSrdC+0], s32       // incToNextRow: gra SRD += inc(lower)
s_addc_u32  s[sgprSrdC+1], s[sgprSrdC+1], 0        // incToNextRow: gra SRD += inc(upper)
_buffer_load_b128 v[16:19], v7, s[sgprSrdC:sgprSrdC+3], 0, offen offset:0,  sc0 sc1 // load C for beta calc
	;; [unrolled: 5-line block ×4, first 2 shown]
v_accvgpr_read_b32 v[vgprValuC+12], acc64 // copy acc to vreg[64]
v_accvgpr_read_b32 v[vgprValuC+13], acc65 // copy acc to vreg[65]
v_accvgpr_read_b32 v[vgprValuC+14], acc72 // copy acc to vreg[66]
v_accvgpr_read_b32 v[vgprValuC+15], acc73 // copy acc to vreg[67]
v_accvgpr_read_b32 v[vgprValuC+20], acc66 // copy acc to vreg[68]
v_accvgpr_read_b32 v[vgprValuC+21], acc67 // copy acc to vreg[69]
v_accvgpr_read_b32 v[vgprValuC+22], acc74 // copy acc to vreg[70]
v_accvgpr_read_b32 v[vgprValuC+23], acc75 // copy acc to vreg[71]
v_accvgpr_read_b32 v[vgprValuC+28], acc68 // copy acc to vreg[72]
v_accvgpr_read_b32 v[vgprValuC+29], acc69 // copy acc to vreg[73]
v_accvgpr_read_b32 v[vgprValuC+30], acc76 // copy acc to vreg[74]
v_accvgpr_read_b32 v[vgprValuC+31], acc77 // copy acc to vreg[75]
v_accvgpr_read_b32 v[vgprValuC+36], acc70 // copy acc to vreg[76]
v_accvgpr_read_b32 v[vgprValuC+37], acc71 // copy acc to vreg[77]
v_accvgpr_read_b32 v[vgprValuC+38], acc78 // copy acc to vreg[78]
v_accvgpr_read_b32 v[vgprValuC+39], acc79 // copy acc to vreg[79]
s_nop 1                                            // 2 wait states required before reading vgpr

/* rC *= alpha batchElements=[(16, 0, 0, 0), (17, 0, 0, 0), (18, 0, 0, 0), (19, 0, 0, 0)] */
v_mul_f64 v[vgprValuC+12:vgprValuC+12+1], s[sgprAlpha:sgprAlpha+1], v[vgprValuC+12:vgprValuC+12+1] // *= alpha
v_mul_f64 v[vgprValuC+14:vgprValuC+14+1], s[sgprAlpha:sgprAlpha+1], v[vgprValuC+14:vgprValuC+14+1] // *= alpha
	;; [unrolled: 1-line block ×8, first 2 shown]

/* apply mask, calc new C and issue writes */

s_waitcnt vmcnt(3)                                 // wait C (interleaved) 3 = 4 - 0 + 0 - 1
v_fma_f64 v[vgprValuC+12:vgprValuC+12+1], v[8:9], s[sgprBeta:sgprBeta+1], v[vgprValuC+12:vgprValuC+12+1] // finalSum = sum*alpha + C*beta
v_fma_f64 v[vgprValuC+14:vgprValuC+14+1], v[10:11], s[sgprBeta:sgprBeta+1], v[vgprValuC+14:vgprValuC+14+1] // finalSum = sum*alpha + C*beta
s_mul_i32 s32, s[sgprStrideD1J], 32                // scale StrideD *= numRows(4) * bpe
s_add_u32  s[sgprSrdD+0], s[sgprSrdD+0], s32       // incToNextRow: gra SRD += inc(lower)
s_addc_u32  s[sgprSrdD+1], s[sgprSrdD+1], 0        // incToNextRow: gra SRD += inc(upper)
_buffer_store_b128 v[12:15], v6, s[sgprSrdD:sgprSrdD+3], 0, offen, offset:0,  sc0 sc1 // store D

s_waitcnt vmcnt(3)                                 // wait C (interleaved) 3 = 4 - 1 + 1 - 1
v_fma_f64 v[vgprValuC+20:vgprValuC+20+1], v[16:17], s[sgprBeta:sgprBeta+1], v[vgprValuC+20:vgprValuC+20+1] // finalSum = sum*alpha + C*beta
v_fma_f64 v[vgprValuC+22:vgprValuC+22+1], v[18:19], s[sgprBeta:sgprBeta+1], v[vgprValuC+22:vgprValuC+22+1] // finalSum = sum*alpha + C*beta
s_mul_i32 s32, s[sgprStrideD1J], 32                // scale StrideD *= numRows(4) * bpe
s_add_u32  s[sgprSrdD+0], s[sgprSrdD+0], s32       // incToNextRow: gra SRD += inc(lower)
s_addc_u32  s[sgprSrdD+1], s[sgprSrdD+1], 0        // incToNextRow: gra SRD += inc(upper)
_buffer_store_b128 v[20:23], v6, s[sgprSrdD:sgprSrdD+3], 0, offen, offset:0,  sc0 sc1 // store D
	;; [unrolled: 8-line block ×4, first 2 shown]
s_nop 0                                            // 1 wait state required when next inst writes vgprs held by previous dwordx4 store inst
/* optSingleColVgpr=1 optSharedColVgpr=0 optSGPRUsage=BufferLoad_Mask optSrdIncForRow=1 */

/******************************************/
/* Global Write Alpha Beta Batch #5 (d1,d0,vc1,vc0) = */
/*    (20,0,0,0:vw2); (21,0,0,0:vw2); (22,0,0,0:vw2); (23,0,0,0:vw2) */
/******************************************/

/* calc coords, apply mask, and issue loads (if necessary) */
/* (d1,vc1,d0,vc0)=(20,0,0,0) */
s_mul_i32 s32, s[sgprStrideC1J], 32                // scale StrideC *= numRows(4) * bpe
s_add_u32  s[sgprSrdC+0], s[sgprSrdC+0], s32       // incToNextRow: gra SRD += inc(lower)
s_addc_u32  s[sgprSrdC+1], s[sgprSrdC+1], 0        // incToNextRow: gra SRD += inc(upper)
_buffer_load_b128 v[8:11], v7, s[sgprSrdC:sgprSrdC+3], 0, offen offset:0,  sc0 sc1 // load C for beta calc
/* (d1,vc1,d0,vc0)=(21,0,0,0) */
s_mul_i32 s32, s[sgprStrideC1J], 32                // scale StrideC *= numRows(4) * bpe
s_add_u32  s[sgprSrdC+0], s[sgprSrdC+0], s32       // incToNextRow: gra SRD += inc(lower)
s_addc_u32  s[sgprSrdC+1], s[sgprSrdC+1], 0        // incToNextRow: gra SRD += inc(upper)
_buffer_load_b128 v[16:19], v7, s[sgprSrdC:sgprSrdC+3], 0, offen offset:0,  sc0 sc1 // load C for beta calc
	;; [unrolled: 5-line block ×4, first 2 shown]
v_accvgpr_read_b32 v[vgprValuC+12], acc80 // copy acc to vreg[80]
v_accvgpr_read_b32 v[vgprValuC+13], acc81 // copy acc to vreg[81]
v_accvgpr_read_b32 v[vgprValuC+14], acc88 // copy acc to vreg[82]
v_accvgpr_read_b32 v[vgprValuC+15], acc89 // copy acc to vreg[83]
v_accvgpr_read_b32 v[vgprValuC+20], acc82 // copy acc to vreg[84]
v_accvgpr_read_b32 v[vgprValuC+21], acc83 // copy acc to vreg[85]
v_accvgpr_read_b32 v[vgprValuC+22], acc90 // copy acc to vreg[86]
v_accvgpr_read_b32 v[vgprValuC+23], acc91 // copy acc to vreg[87]
v_accvgpr_read_b32 v[vgprValuC+28], acc84 // copy acc to vreg[88]
v_accvgpr_read_b32 v[vgprValuC+29], acc85 // copy acc to vreg[89]
v_accvgpr_read_b32 v[vgprValuC+30], acc92 // copy acc to vreg[90]
v_accvgpr_read_b32 v[vgprValuC+31], acc93 // copy acc to vreg[91]
v_accvgpr_read_b32 v[vgprValuC+36], acc86 // copy acc to vreg[92]
v_accvgpr_read_b32 v[vgprValuC+37], acc87 // copy acc to vreg[93]
v_accvgpr_read_b32 v[vgprValuC+38], acc94 // copy acc to vreg[94]
v_accvgpr_read_b32 v[vgprValuC+39], acc95 // copy acc to vreg[95]
s_nop 1                                            // 2 wait states required before reading vgpr

/* rC *= alpha batchElements=[(20, 0, 0, 0), (21, 0, 0, 0), (22, 0, 0, 0), (23, 0, 0, 0)] */
v_mul_f64 v[vgprValuC+12:vgprValuC+12+1], s[sgprAlpha:sgprAlpha+1], v[vgprValuC+12:vgprValuC+12+1] // *= alpha
v_mul_f64 v[vgprValuC+14:vgprValuC+14+1], s[sgprAlpha:sgprAlpha+1], v[vgprValuC+14:vgprValuC+14+1] // *= alpha
v_mul_f64 v[vgprValuC+20:vgprValuC+20+1], s[sgprAlpha:sgprAlpha+1], v[vgprValuC+20:vgprValuC+20+1] // *= alpha
v_mul_f64 v[vgprValuC+22:vgprValuC+22+1], s[sgprAlpha:sgprAlpha+1], v[vgprValuC+22:vgprValuC+22+1] // *= alpha
v_mul_f64 v[vgprValuC+28:vgprValuC+28+1], s[sgprAlpha:sgprAlpha+1], v[vgprValuC+28:vgprValuC+28+1] // *= alpha
v_mul_f64 v[vgprValuC+30:vgprValuC+30+1], s[sgprAlpha:sgprAlpha+1], v[vgprValuC+30:vgprValuC+30+1] // *= alpha
v_mul_f64 v[vgprValuC+36:vgprValuC+36+1], s[sgprAlpha:sgprAlpha+1], v[vgprValuC+36:vgprValuC+36+1] // *= alpha
v_mul_f64 v[vgprValuC+38:vgprValuC+38+1], s[sgprAlpha:sgprAlpha+1], v[vgprValuC+38:vgprValuC+38+1] // *= alpha

/* apply mask, calc new C and issue writes */

s_waitcnt vmcnt(3)                                 // wait C (interleaved) 3 = 4 - 0 + 0 - 1
v_fma_f64 v[vgprValuC+12:vgprValuC+12+1], v[8:9], s[sgprBeta:sgprBeta+1], v[vgprValuC+12:vgprValuC+12+1] // finalSum = sum*alpha + C*beta
v_fma_f64 v[vgprValuC+14:vgprValuC+14+1], v[10:11], s[sgprBeta:sgprBeta+1], v[vgprValuC+14:vgprValuC+14+1] // finalSum = sum*alpha + C*beta
s_mul_i32 s32, s[sgprStrideD1J], 32                // scale StrideD *= numRows(4) * bpe
s_add_u32  s[sgprSrdD+0], s[sgprSrdD+0], s32       // incToNextRow: gra SRD += inc(lower)
s_addc_u32  s[sgprSrdD+1], s[sgprSrdD+1], 0        // incToNextRow: gra SRD += inc(upper)
_buffer_store_b128 v[12:15], v6, s[sgprSrdD:sgprSrdD+3], 0, offen, offset:0,  sc0 sc1 // store D

s_waitcnt vmcnt(3)                                 // wait C (interleaved) 3 = 4 - 1 + 1 - 1
v_fma_f64 v[vgprValuC+20:vgprValuC+20+1], v[16:17], s[sgprBeta:sgprBeta+1], v[vgprValuC+20:vgprValuC+20+1] // finalSum = sum*alpha + C*beta
v_fma_f64 v[vgprValuC+22:vgprValuC+22+1], v[18:19], s[sgprBeta:sgprBeta+1], v[vgprValuC+22:vgprValuC+22+1] // finalSum = sum*alpha + C*beta
s_mul_i32 s32, s[sgprStrideD1J], 32                // scale StrideD *= numRows(4) * bpe
s_add_u32  s[sgprSrdD+0], s[sgprSrdD+0], s32       // incToNextRow: gra SRD += inc(lower)
s_addc_u32  s[sgprSrdD+1], s[sgprSrdD+1], 0        // incToNextRow: gra SRD += inc(upper)
_buffer_store_b128 v[20:23], v6, s[sgprSrdD:sgprSrdD+3], 0, offen, offset:0,  sc0 sc1 // store D
	;; [unrolled: 8-line block ×4, first 2 shown]
s_nop 0                                            // 1 wait state required when next inst writes vgprs held by previous dwordx4 store inst
/* optSingleColVgpr=1 optSharedColVgpr=0 optSGPRUsage=BufferLoad_Mask optSrdIncForRow=1 */

/******************************************/
/* Global Write Alpha Beta Batch #6 (d1,d0,vc1,vc0) = */
/*    (24,0,0,0:vw2); (25,0,0,0:vw2); (26,0,0,0:vw2); (27,0,0,0:vw2) */
/******************************************/

/* calc coords, apply mask, and issue loads (if necessary) */
/* (d1,vc1,d0,vc0)=(24,0,0,0) */
s_mul_i32 s32, s[sgprStrideC1J], 32                // scale StrideC *= numRows(4) * bpe
s_add_u32  s[sgprSrdC+0], s[sgprSrdC+0], s32       // incToNextRow: gra SRD += inc(lower)
s_addc_u32  s[sgprSrdC+1], s[sgprSrdC+1], 0        // incToNextRow: gra SRD += inc(upper)
_buffer_load_b128 v[8:11], v7, s[sgprSrdC:sgprSrdC+3], 0, offen offset:0,  sc0 sc1 // load C for beta calc
/* (d1,vc1,d0,vc0)=(25,0,0,0) */
s_mul_i32 s32, s[sgprStrideC1J], 32                // scale StrideC *= numRows(4) * bpe
s_add_u32  s[sgprSrdC+0], s[sgprSrdC+0], s32       // incToNextRow: gra SRD += inc(lower)
s_addc_u32  s[sgprSrdC+1], s[sgprSrdC+1], 0        // incToNextRow: gra SRD += inc(upper)
_buffer_load_b128 v[16:19], v7, s[sgprSrdC:sgprSrdC+3], 0, offen offset:0,  sc0 sc1 // load C for beta calc
	;; [unrolled: 5-line block ×4, first 2 shown]
v_accvgpr_read_b32 v[vgprValuC+12], acc96 // copy acc to vreg[96]
v_accvgpr_read_b32 v[vgprValuC+13], acc97 // copy acc to vreg[97]
v_accvgpr_read_b32 v[vgprValuC+14], acc104 // copy acc to vreg[98]
v_accvgpr_read_b32 v[vgprValuC+15], acc105 // copy acc to vreg[99]
v_accvgpr_read_b32 v[vgprValuC+20], acc98 // copy acc to vreg[100]
v_accvgpr_read_b32 v[vgprValuC+21], acc99 // copy acc to vreg[101]
v_accvgpr_read_b32 v[vgprValuC+22], acc106 // copy acc to vreg[102]
v_accvgpr_read_b32 v[vgprValuC+23], acc107 // copy acc to vreg[103]
v_accvgpr_read_b32 v[vgprValuC+28], acc100 // copy acc to vreg[104]
v_accvgpr_read_b32 v[vgprValuC+29], acc101 // copy acc to vreg[105]
v_accvgpr_read_b32 v[vgprValuC+30], acc108 // copy acc to vreg[106]
v_accvgpr_read_b32 v[vgprValuC+31], acc109 // copy acc to vreg[107]
v_accvgpr_read_b32 v[vgprValuC+36], acc102 // copy acc to vreg[108]
v_accvgpr_read_b32 v[vgprValuC+37], acc103 // copy acc to vreg[109]
v_accvgpr_read_b32 v[vgprValuC+38], acc110 // copy acc to vreg[110]
v_accvgpr_read_b32 v[vgprValuC+39], acc111 // copy acc to vreg[111]
s_nop 1                                            // 2 wait states required before reading vgpr

/* rC *= alpha batchElements=[(24, 0, 0, 0), (25, 0, 0, 0), (26, 0, 0, 0), (27, 0, 0, 0)] */
v_mul_f64 v[vgprValuC+12:vgprValuC+12+1], s[sgprAlpha:sgprAlpha+1], v[vgprValuC+12:vgprValuC+12+1] // *= alpha
v_mul_f64 v[vgprValuC+14:vgprValuC+14+1], s[sgprAlpha:sgprAlpha+1], v[vgprValuC+14:vgprValuC+14+1] // *= alpha
	;; [unrolled: 1-line block ×8, first 2 shown]

/* apply mask, calc new C and issue writes */

s_waitcnt vmcnt(3)                                 // wait C (interleaved) 3 = 4 - 0 + 0 - 1
v_fma_f64 v[vgprValuC+12:vgprValuC+12+1], v[8:9], s[sgprBeta:sgprBeta+1], v[vgprValuC+12:vgprValuC+12+1] // finalSum = sum*alpha + C*beta
v_fma_f64 v[vgprValuC+14:vgprValuC+14+1], v[10:11], s[sgprBeta:sgprBeta+1], v[vgprValuC+14:vgprValuC+14+1] // finalSum = sum*alpha + C*beta
s_mul_i32 s32, s[sgprStrideD1J], 32                // scale StrideD *= numRows(4) * bpe
s_add_u32  s[sgprSrdD+0], s[sgprSrdD+0], s32       // incToNextRow: gra SRD += inc(lower)
s_addc_u32  s[sgprSrdD+1], s[sgprSrdD+1], 0        // incToNextRow: gra SRD += inc(upper)
_buffer_store_b128 v[12:15], v6, s[sgprSrdD:sgprSrdD+3], 0, offen, offset:0,  sc0 sc1 // store D

s_waitcnt vmcnt(3)                                 // wait C (interleaved) 3 = 4 - 1 + 1 - 1
v_fma_f64 v[vgprValuC+20:vgprValuC+20+1], v[16:17], s[sgprBeta:sgprBeta+1], v[vgprValuC+20:vgprValuC+20+1] // finalSum = sum*alpha + C*beta
v_fma_f64 v[vgprValuC+22:vgprValuC+22+1], v[18:19], s[sgprBeta:sgprBeta+1], v[vgprValuC+22:vgprValuC+22+1] // finalSum = sum*alpha + C*beta
s_mul_i32 s32, s[sgprStrideD1J], 32                // scale StrideD *= numRows(4) * bpe
s_add_u32  s[sgprSrdD+0], s[sgprSrdD+0], s32       // incToNextRow: gra SRD += inc(lower)
s_addc_u32  s[sgprSrdD+1], s[sgprSrdD+1], 0        // incToNextRow: gra SRD += inc(upper)
_buffer_store_b128 v[20:23], v6, s[sgprSrdD:sgprSrdD+3], 0, offen, offset:0,  sc0 sc1 // store D
	;; [unrolled: 8-line block ×4, first 2 shown]
s_nop 0                                            // 1 wait state required when next inst writes vgprs held by previous dwordx4 store inst
s_branch label_GW_End_44                           // jump to end
GW_B1_E1_43:

/* edge=1, allocate 6 sgpr. perBatchTmpS=4 perBatchMaskS=2 perElementMaskS=0 elementsPerBatch=4 */
/* optSingleColVgpr=0 optSharedColVgpr=0 optSGPRUsage=BufferLoad_Edge_Mask optSrdIncForRow=0 */

/******************************************/
/* Global Write Alpha Beta Edge Batch #0 (d1,d0,vc1,vc0) = */
/*    (0,0,0,0:vw1); (0,0,0,1:vw1); (1,0,0,0:vw1); (1,0,0,1:vw1) */
/******************************************/

/* calc coords, apply mask, and issue loads (if necessary) */
/* (d1,vc1,d0,vc0)=(0,0,0,0) */
v_cmp_lt_u32 s[54:55], v0, s[sgprSizeI]            // coord0 < size0
v_cmp_lt_u32 s[58:59], v1, s[sgprSizeJ]            // coord1 < size1
s_and_b64 s[58:59], s[54:55], s[58:59]             // in0 && in1
_v_add_lshl_u32 v6, v2, v0, 0x3                    // scaleToBpe: accumulate d0 lower and *= bpe into Cin addr
v_cndmask_b32 v6, -1, v6, s[58:59]                 // LDC clip if OOB. offset
_buffer_load_b64 v[8:9], v6, s[sgprSrdC:sgprSrdC+3], 0, offen offset:0,  sc0 sc1 // load C for beta calc
_v_add_lshl_u32 v6, v3, v0, 0x3                    // scaleToBpe: accumulate d0 lower and *= bpe into Cin addr
v_cndmask_b32 v6, -1, v6, s[58:59]                 // LDD clip if OOB. offset
/* (d1,vc1,d0,vc0)=(0,0,0,1) */
_v_add_co_u32 v4, vcc, v0, 1                       // coord0.1: coord0 += d0*sg0*VW + vc0
v_cmp_lt_u32 s[54:55], v4, s[sgprSizeI]            // coord0 < size0
v_cmp_lt_u32 s[58:59], v1, s[sgprSizeJ]            // coord1 < size1
s_and_b64 s[58:59], s[54:55], s[58:59]             // in0 && in1
_v_add_lshl_u32 v7, v2, v4, 0x3                    // scaleToBpe: accumulate d0 lower and *= bpe into Cin addr
v_cndmask_b32 v7, -1, v7, s[58:59]                 // LDC clip if OOB. offset
_buffer_load_b64 v[12:13], v7, s[sgprSrdC:sgprSrdC+3], 0, offen offset:0,  sc0 sc1 // load C for beta calc
_v_add_lshl_u32 v7, v3, v4, 0x3                    // scaleToBpe: accumulate d0 lower and *= bpe into Cin addr
v_cndmask_b32 v7, -1, v7, s[58:59]                 // LDD clip if OOB. offset
/* (d1,vc1,d0,vc0)=(1,0,0,0) */
_v_add_co_u32 v1, vcc, v1, 4                       // coord1.1: coord1Vgpr += d1*sg1*VW + vc1

/* Fix for UseInitialStridesCD, emitAddressSetupCode */
s_mul_i32 s54, s[sgprStrideC1J], 4                 // scale stride
_v_add_u32 v2, v2, s54                             // ROWINC- Move cinRowPtr to next row
s_mul_i32 s54, s[sgprStrideD1J], 4                 // scale stride
_v_add_u32 v3, v3, s54                             // Move coutRowPtr to next row
v_cmp_lt_u32 s[54:55], v0, s[sgprSizeI]            // coord0 < size0
v_cmp_lt_u32 s[58:59], v1, s[sgprSizeJ]            // coord1 < size1
s_and_b64 s[58:59], s[54:55], s[58:59]             // in0 && in1
_v_add_lshl_u32 v16, v2, v0, 0x3                   // scaleToBpe: accumulate d0 lower and *= bpe into Cin addr
v_cndmask_b32 v16, -1, v16, s[58:59]               // LDC clip if OOB. offset
_buffer_load_b64 v[18:19], v16, s[sgprSrdC:sgprSrdC+3], 0, offen offset:0,  sc0 sc1 // load C for beta calc
_v_add_lshl_u32 v16, v3, v0, 0x3                   // scaleToBpe: accumulate d0 lower and *= bpe into Cin addr
v_cndmask_b32 v16, -1, v16, s[58:59]               // LDD clip if OOB. offset
/* (d1,vc1,d0,vc0)=(1,0,0,1) */
_v_add_co_u32 v4, vcc, v0, 1                       // coord0.1: coord0 += d0*sg0*VW + vc0
v_cmp_lt_u32 s[54:55], v4, s[sgprSizeI]            // coord0 < size0
v_cmp_lt_u32 s[58:59], v1, s[sgprSizeJ]            // coord1 < size1
s_and_b64 s[58:59], s[54:55], s[58:59]             // in0 && in1
_v_add_lshl_u32 v17, v2, v4, 0x3                   // scaleToBpe: accumulate d0 lower and *= bpe into Cin addr
v_cndmask_b32 v17, -1, v17, s[58:59]               // LDC clip if OOB. offset
_buffer_load_b64 v[22:23], v17, s[sgprSrdC:sgprSrdC+3], 0, offen offset:0,  sc0 sc1 // load C for beta calc
_v_add_lshl_u32 v17, v3, v4, 0x3                   // scaleToBpe: accumulate d0 lower and *= bpe into Cin addr
v_cndmask_b32 v17, -1, v17, s[58:59]               // LDD clip if OOB. offset
v_accvgpr_read_b32 v[vgprValuC+10], acc0 // copy acc to vreg[0]
v_accvgpr_read_b32 v[vgprValuC+11], acc1 // copy acc to vreg[1]
v_accvgpr_read_b32 v[vgprValuC+14], acc8 // copy acc to vreg[2]
v_accvgpr_read_b32 v[vgprValuC+15], acc9 // copy acc to vreg[3]
v_accvgpr_read_b32 v[vgprValuC+20], acc2 // copy acc to vreg[4]
v_accvgpr_read_b32 v[vgprValuC+21], acc3 // copy acc to vreg[5]
v_accvgpr_read_b32 v[vgprValuC+24], acc10 // copy acc to vreg[6]
v_accvgpr_read_b32 v[vgprValuC+25], acc11 // copy acc to vreg[7]
s_nop 1                                            // 2 wait states required before reading vgpr

/* rC *= alpha batchElements=[(0, 0, 0, 0), (0, 0, 0, 1), (1, 0, 0, 0), (1, 0, 0, 1)] */
v_mul_f64 v[vgprValuC+10:vgprValuC+10+1], s[sgprAlpha:sgprAlpha+1], v[vgprValuC+10:vgprValuC+10+1] // *= alpha
v_mul_f64 v[vgprValuC+14:vgprValuC+14+1], s[sgprAlpha:sgprAlpha+1], v[vgprValuC+14:vgprValuC+14+1] // *= alpha
v_mul_f64 v[vgprValuC+20:vgprValuC+20+1], s[sgprAlpha:sgprAlpha+1], v[vgprValuC+20:vgprValuC+20+1] // *= alpha
v_mul_f64 v[vgprValuC+24:vgprValuC+24+1], s[sgprAlpha:sgprAlpha+1], v[vgprValuC+24:vgprValuC+24+1] // *= alpha
s_waitcnt vmcnt(0)                                 // wait C

/* apply mask, calc new C and issue writes */
v_fma_f64 v[vgprValuC+10:vgprValuC+10+1], v[8:9], s[sgprBeta:sgprBeta+1], v[vgprValuC+10:vgprValuC+10+1] // finalSum = sum*alpha + C*beta
_buffer_store_b64 v[10:11], v6, s[sgprSrdD:sgprSrdD+3], 0, offen, offset:0,  sc0 sc1 // store D
v_fma_f64 v[vgprValuC+14:vgprValuC+14+1], v[12:13], s[sgprBeta:sgprBeta+1], v[vgprValuC+14:vgprValuC+14+1] // finalSum = sum*alpha + C*beta
_buffer_store_b64 v[14:15], v7, s[sgprSrdD:sgprSrdD+3], 0, offen, offset:0,  sc0 sc1 // store D
	;; [unrolled: 2-line block ×4, first 2 shown]
s_nop 0                                            // 1 wait state required when next inst writes vgprs held by previous dwordx4 store inst
/* optSingleColVgpr=0 optSharedColVgpr=0 optSGPRUsage=BufferLoad_Edge_Mask optSrdIncForRow=0 */

/******************************************/
/* Global Write Alpha Beta Edge Batch #1 (d1,d0,vc1,vc0) = */
/*    (2,0,0,0:vw1); (2,0,0,1:vw1); (3,0,0,0:vw1); (3,0,0,1:vw1) */
/******************************************/

/* calc coords, apply mask, and issue loads (if necessary) */
/* (d1,vc1,d0,vc0)=(2,0,0,0) */
_v_add_co_u32 v1, vcc, v1, 4                       // coord1.1: coord1Vgpr += d1*sg1*VW + vc1

/* Fix for UseInitialStridesCD, emitAddressSetupCode */
s_mul_i32 s54, s[sgprStrideC1J], 4                 // scale stride
_v_add_u32 v2, v2, s54                             // ROWINC- Move cinRowPtr to next row
s_mul_i32 s54, s[sgprStrideD1J], 4                 // scale stride
_v_add_u32 v3, v3, s54                             // Move coutRowPtr to next row
v_cmp_lt_u32 s[54:55], v0, s[sgprSizeI]            // coord0 < size0
v_cmp_lt_u32 s[58:59], v1, s[sgprSizeJ]            // coord1 < size1
s_and_b64 s[58:59], s[54:55], s[58:59]             // in0 && in1
_v_add_lshl_u32 v6, v2, v0, 0x3                    // scaleToBpe: accumulate d0 lower and *= bpe into Cin addr
v_cndmask_b32 v6, -1, v6, s[58:59]                 // LDC clip if OOB. offset
_buffer_load_b64 v[8:9], v6, s[sgprSrdC:sgprSrdC+3], 0, offen offset:0,  sc0 sc1 // load C for beta calc
_v_add_lshl_u32 v6, v3, v0, 0x3                    // scaleToBpe: accumulate d0 lower and *= bpe into Cin addr
v_cndmask_b32 v6, -1, v6, s[58:59]                 // LDD clip if OOB. offset
/* (d1,vc1,d0,vc0)=(2,0,0,1) */
_v_add_co_u32 v4, vcc, v0, 1                       // coord0.1: coord0 += d0*sg0*VW + vc0
v_cmp_lt_u32 s[54:55], v4, s[sgprSizeI]            // coord0 < size0
v_cmp_lt_u32 s[58:59], v1, s[sgprSizeJ]            // coord1 < size1
s_and_b64 s[58:59], s[54:55], s[58:59]             // in0 && in1
_v_add_lshl_u32 v7, v2, v4, 0x3                    // scaleToBpe: accumulate d0 lower and *= bpe into Cin addr
v_cndmask_b32 v7, -1, v7, s[58:59]                 // LDC clip if OOB. offset
_buffer_load_b64 v[12:13], v7, s[sgprSrdC:sgprSrdC+3], 0, offen offset:0,  sc0 sc1 // load C for beta calc
_v_add_lshl_u32 v7, v3, v4, 0x3                    // scaleToBpe: accumulate d0 lower and *= bpe into Cin addr
v_cndmask_b32 v7, -1, v7, s[58:59]                 // LDD clip if OOB. offset
/* (d1,vc1,d0,vc0)=(3,0,0,0) */
_v_add_co_u32 v1, vcc, v1, 4                       // coord1.1: coord1Vgpr += d1*sg1*VW + vc1

/* Fix for UseInitialStridesCD, emitAddressSetupCode */
s_mul_i32 s54, s[sgprStrideC1J], 4                 // scale stride
_v_add_u32 v2, v2, s54                             // ROWINC- Move cinRowPtr to next row
s_mul_i32 s54, s[sgprStrideD1J], 4                 // scale stride
_v_add_u32 v3, v3, s54                             // Move coutRowPtr to next row
v_cmp_lt_u32 s[54:55], v0, s[sgprSizeI]            // coord0 < size0
v_cmp_lt_u32 s[58:59], v1, s[sgprSizeJ]            // coord1 < size1
s_and_b64 s[58:59], s[54:55], s[58:59]             // in0 && in1
_v_add_lshl_u32 v16, v2, v0, 0x3                   // scaleToBpe: accumulate d0 lower and *= bpe into Cin addr
v_cndmask_b32 v16, -1, v16, s[58:59]               // LDC clip if OOB. offset
_buffer_load_b64 v[18:19], v16, s[sgprSrdC:sgprSrdC+3], 0, offen offset:0,  sc0 sc1 // load C for beta calc
_v_add_lshl_u32 v16, v3, v0, 0x3                   // scaleToBpe: accumulate d0 lower and *= bpe into Cin addr
v_cndmask_b32 v16, -1, v16, s[58:59]               // LDD clip if OOB. offset
/* (d1,vc1,d0,vc0)=(3,0,0,1) */
_v_add_co_u32 v4, vcc, v0, 1                       // coord0.1: coord0 += d0*sg0*VW + vc0
v_cmp_lt_u32 s[54:55], v4, s[sgprSizeI]            // coord0 < size0
v_cmp_lt_u32 s[58:59], v1, s[sgprSizeJ]            // coord1 < size1
s_and_b64 s[58:59], s[54:55], s[58:59]             // in0 && in1
_v_add_lshl_u32 v17, v2, v4, 0x3                   // scaleToBpe: accumulate d0 lower and *= bpe into Cin addr
v_cndmask_b32 v17, -1, v17, s[58:59]               // LDC clip if OOB. offset
_buffer_load_b64 v[22:23], v17, s[sgprSrdC:sgprSrdC+3], 0, offen offset:0,  sc0 sc1 // load C for beta calc
_v_add_lshl_u32 v17, v3, v4, 0x3                   // scaleToBpe: accumulate d0 lower and *= bpe into Cin addr
v_cndmask_b32 v17, -1, v17, s[58:59]               // LDD clip if OOB. offset
v_accvgpr_read_b32 v[vgprValuC+10], acc4 // copy acc to vreg[8]
v_accvgpr_read_b32 v[vgprValuC+11], acc5 // copy acc to vreg[9]
v_accvgpr_read_b32 v[vgprValuC+14], acc12 // copy acc to vreg[10]
v_accvgpr_read_b32 v[vgprValuC+15], acc13 // copy acc to vreg[11]
v_accvgpr_read_b32 v[vgprValuC+20], acc6 // copy acc to vreg[12]
v_accvgpr_read_b32 v[vgprValuC+21], acc7 // copy acc to vreg[13]
v_accvgpr_read_b32 v[vgprValuC+24], acc14 // copy acc to vreg[14]
v_accvgpr_read_b32 v[vgprValuC+25], acc15 // copy acc to vreg[15]
s_nop 1                                            // 2 wait states required before reading vgpr

/* rC *= alpha batchElements=[(2, 0, 0, 0), (2, 0, 0, 1), (3, 0, 0, 0), (3, 0, 0, 1)] */
v_mul_f64 v[vgprValuC+10:vgprValuC+10+1], s[sgprAlpha:sgprAlpha+1], v[vgprValuC+10:vgprValuC+10+1] // *= alpha
v_mul_f64 v[vgprValuC+14:vgprValuC+14+1], s[sgprAlpha:sgprAlpha+1], v[vgprValuC+14:vgprValuC+14+1] // *= alpha
	;; [unrolled: 1-line block ×4, first 2 shown]
s_waitcnt vmcnt(0)                                 // wait C

/* apply mask, calc new C and issue writes */
v_fma_f64 v[vgprValuC+10:vgprValuC+10+1], v[8:9], s[sgprBeta:sgprBeta+1], v[vgprValuC+10:vgprValuC+10+1] // finalSum = sum*alpha + C*beta
_buffer_store_b64 v[10:11], v6, s[sgprSrdD:sgprSrdD+3], 0, offen, offset:0,  sc0 sc1 // store D
v_fma_f64 v[vgprValuC+14:vgprValuC+14+1], v[12:13], s[sgprBeta:sgprBeta+1], v[vgprValuC+14:vgprValuC+14+1] // finalSum = sum*alpha + C*beta
_buffer_store_b64 v[14:15], v7, s[sgprSrdD:sgprSrdD+3], 0, offen, offset:0,  sc0 sc1 // store D
v_fma_f64 v[vgprValuC+20:vgprValuC+20+1], v[18:19], s[sgprBeta:sgprBeta+1], v[vgprValuC+20:vgprValuC+20+1] // finalSum = sum*alpha + C*beta
_buffer_store_b64 v[20:21], v16, s[sgprSrdD:sgprSrdD+3], 0, offen, offset:0,  sc0 sc1 // store D
v_fma_f64 v[vgprValuC+24:vgprValuC+24+1], v[22:23], s[sgprBeta:sgprBeta+1], v[vgprValuC+24:vgprValuC+24+1] // finalSum = sum*alpha + C*beta
_buffer_store_b64 v[24:25], v17, s[sgprSrdD:sgprSrdD+3], 0, offen, offset:0,  sc0 sc1 // store D
s_nop 0                                            // 1 wait state required when next inst writes vgprs held by previous dwordx4 store inst
/* optSingleColVgpr=0 optSharedColVgpr=0 optSGPRUsage=BufferLoad_Edge_Mask optSrdIncForRow=0 */

/******************************************/
/* Global Write Alpha Beta Edge Batch #2 (d1,d0,vc1,vc0) = */
/*    (4,0,0,0:vw1); (4,0,0,1:vw1); (5,0,0,0:vw1); (5,0,0,1:vw1) */
/******************************************/

/* calc coords, apply mask, and issue loads (if necessary) */
/* (d1,vc1,d0,vc0)=(4,0,0,0) */
_v_add_co_u32 v1, vcc, v1, 4                       // coord1.1: coord1Vgpr += d1*sg1*VW + vc1

/* Fix for UseInitialStridesCD, emitAddressSetupCode */
s_mul_i32 s54, s[sgprStrideC1J], 4                 // scale stride
_v_add_u32 v2, v2, s54                             // ROWINC- Move cinRowPtr to next row
s_mul_i32 s54, s[sgprStrideD1J], 4                 // scale stride
_v_add_u32 v3, v3, s54                             // Move coutRowPtr to next row
v_cmp_lt_u32 s[54:55], v0, s[sgprSizeI]            // coord0 < size0
v_cmp_lt_u32 s[58:59], v1, s[sgprSizeJ]            // coord1 < size1
s_and_b64 s[58:59], s[54:55], s[58:59]             // in0 && in1
_v_add_lshl_u32 v6, v2, v0, 0x3                    // scaleToBpe: accumulate d0 lower and *= bpe into Cin addr
v_cndmask_b32 v6, -1, v6, s[58:59]                 // LDC clip if OOB. offset
_buffer_load_b64 v[8:9], v6, s[sgprSrdC:sgprSrdC+3], 0, offen offset:0,  sc0 sc1 // load C for beta calc
_v_add_lshl_u32 v6, v3, v0, 0x3                    // scaleToBpe: accumulate d0 lower and *= bpe into Cin addr
v_cndmask_b32 v6, -1, v6, s[58:59]                 // LDD clip if OOB. offset
/* (d1,vc1,d0,vc0)=(4,0,0,1) */
_v_add_co_u32 v4, vcc, v0, 1                       // coord0.1: coord0 += d0*sg0*VW + vc0
v_cmp_lt_u32 s[54:55], v4, s[sgprSizeI]            // coord0 < size0
v_cmp_lt_u32 s[58:59], v1, s[sgprSizeJ]            // coord1 < size1
s_and_b64 s[58:59], s[54:55], s[58:59]             // in0 && in1
_v_add_lshl_u32 v7, v2, v4, 0x3                    // scaleToBpe: accumulate d0 lower and *= bpe into Cin addr
v_cndmask_b32 v7, -1, v7, s[58:59]                 // LDC clip if OOB. offset
_buffer_load_b64 v[12:13], v7, s[sgprSrdC:sgprSrdC+3], 0, offen offset:0,  sc0 sc1 // load C for beta calc
_v_add_lshl_u32 v7, v3, v4, 0x3                    // scaleToBpe: accumulate d0 lower and *= bpe into Cin addr
v_cndmask_b32 v7, -1, v7, s[58:59]                 // LDD clip if OOB. offset
/* (d1,vc1,d0,vc0)=(5,0,0,0) */
_v_add_co_u32 v1, vcc, v1, 4                       // coord1.1: coord1Vgpr += d1*sg1*VW + vc1

/* Fix for UseInitialStridesCD, emitAddressSetupCode */
s_mul_i32 s54, s[sgprStrideC1J], 4                 // scale stride
_v_add_u32 v2, v2, s54                             // ROWINC- Move cinRowPtr to next row
s_mul_i32 s54, s[sgprStrideD1J], 4                 // scale stride
_v_add_u32 v3, v3, s54                             // Move coutRowPtr to next row
v_cmp_lt_u32 s[54:55], v0, s[sgprSizeI]            // coord0 < size0
v_cmp_lt_u32 s[58:59], v1, s[sgprSizeJ]            // coord1 < size1
s_and_b64 s[58:59], s[54:55], s[58:59]             // in0 && in1
_v_add_lshl_u32 v16, v2, v0, 0x3                   // scaleToBpe: accumulate d0 lower and *= bpe into Cin addr
v_cndmask_b32 v16, -1, v16, s[58:59]               // LDC clip if OOB. offset
_buffer_load_b64 v[18:19], v16, s[sgprSrdC:sgprSrdC+3], 0, offen offset:0,  sc0 sc1 // load C for beta calc
_v_add_lshl_u32 v16, v3, v0, 0x3                   // scaleToBpe: accumulate d0 lower and *= bpe into Cin addr
v_cndmask_b32 v16, -1, v16, s[58:59]               // LDD clip if OOB. offset
/* (d1,vc1,d0,vc0)=(5,0,0,1) */
_v_add_co_u32 v4, vcc, v0, 1                       // coord0.1: coord0 += d0*sg0*VW + vc0
v_cmp_lt_u32 s[54:55], v4, s[sgprSizeI]            // coord0 < size0
v_cmp_lt_u32 s[58:59], v1, s[sgprSizeJ]            // coord1 < size1
s_and_b64 s[58:59], s[54:55], s[58:59]             // in0 && in1
_v_add_lshl_u32 v17, v2, v4, 0x3                   // scaleToBpe: accumulate d0 lower and *= bpe into Cin addr
v_cndmask_b32 v17, -1, v17, s[58:59]               // LDC clip if OOB. offset
_buffer_load_b64 v[22:23], v17, s[sgprSrdC:sgprSrdC+3], 0, offen offset:0,  sc0 sc1 // load C for beta calc
_v_add_lshl_u32 v17, v3, v4, 0x3                   // scaleToBpe: accumulate d0 lower and *= bpe into Cin addr
v_cndmask_b32 v17, -1, v17, s[58:59]               // LDD clip if OOB. offset
v_accvgpr_read_b32 v[vgprValuC+10], acc16 // copy acc to vreg[16]
v_accvgpr_read_b32 v[vgprValuC+11], acc17 // copy acc to vreg[17]
v_accvgpr_read_b32 v[vgprValuC+14], acc24 // copy acc to vreg[18]
v_accvgpr_read_b32 v[vgprValuC+15], acc25 // copy acc to vreg[19]
v_accvgpr_read_b32 v[vgprValuC+20], acc18 // copy acc to vreg[20]
v_accvgpr_read_b32 v[vgprValuC+21], acc19 // copy acc to vreg[21]
v_accvgpr_read_b32 v[vgprValuC+24], acc26 // copy acc to vreg[22]
v_accvgpr_read_b32 v[vgprValuC+25], acc27 // copy acc to vreg[23]
s_nop 1                                            // 2 wait states required before reading vgpr

/* rC *= alpha batchElements=[(4, 0, 0, 0), (4, 0, 0, 1), (5, 0, 0, 0), (5, 0, 0, 1)] */
v_mul_f64 v[vgprValuC+10:vgprValuC+10+1], s[sgprAlpha:sgprAlpha+1], v[vgprValuC+10:vgprValuC+10+1] // *= alpha
v_mul_f64 v[vgprValuC+14:vgprValuC+14+1], s[sgprAlpha:sgprAlpha+1], v[vgprValuC+14:vgprValuC+14+1] // *= alpha
	;; [unrolled: 1-line block ×4, first 2 shown]
s_waitcnt vmcnt(0)                                 // wait C

/* apply mask, calc new C and issue writes */
v_fma_f64 v[vgprValuC+10:vgprValuC+10+1], v[8:9], s[sgprBeta:sgprBeta+1], v[vgprValuC+10:vgprValuC+10+1] // finalSum = sum*alpha + C*beta
_buffer_store_b64 v[10:11], v6, s[sgprSrdD:sgprSrdD+3], 0, offen, offset:0,  sc0 sc1 // store D
v_fma_f64 v[vgprValuC+14:vgprValuC+14+1], v[12:13], s[sgprBeta:sgprBeta+1], v[vgprValuC+14:vgprValuC+14+1] // finalSum = sum*alpha + C*beta
_buffer_store_b64 v[14:15], v7, s[sgprSrdD:sgprSrdD+3], 0, offen, offset:0,  sc0 sc1 // store D
	;; [unrolled: 2-line block ×4, first 2 shown]
s_nop 0                                            // 1 wait state required when next inst writes vgprs held by previous dwordx4 store inst
/* optSingleColVgpr=0 optSharedColVgpr=0 optSGPRUsage=BufferLoad_Edge_Mask optSrdIncForRow=0 */

/******************************************/
/* Global Write Alpha Beta Edge Batch #3 (d1,d0,vc1,vc0) = */
/*    (6,0,0,0:vw1); (6,0,0,1:vw1); (7,0,0,0:vw1); (7,0,0,1:vw1) */
/******************************************/

/* calc coords, apply mask, and issue loads (if necessary) */
/* (d1,vc1,d0,vc0)=(6,0,0,0) */
_v_add_co_u32 v1, vcc, v1, 4                       // coord1.1: coord1Vgpr += d1*sg1*VW + vc1

/* Fix for UseInitialStridesCD, emitAddressSetupCode */
s_mul_i32 s54, s[sgprStrideC1J], 4                 // scale stride
_v_add_u32 v2, v2, s54                             // ROWINC- Move cinRowPtr to next row
s_mul_i32 s54, s[sgprStrideD1J], 4                 // scale stride
_v_add_u32 v3, v3, s54                             // Move coutRowPtr to next row
v_cmp_lt_u32 s[54:55], v0, s[sgprSizeI]            // coord0 < size0
v_cmp_lt_u32 s[58:59], v1, s[sgprSizeJ]            // coord1 < size1
s_and_b64 s[58:59], s[54:55], s[58:59]             // in0 && in1
_v_add_lshl_u32 v6, v2, v0, 0x3                    // scaleToBpe: accumulate d0 lower and *= bpe into Cin addr
v_cndmask_b32 v6, -1, v6, s[58:59]                 // LDC clip if OOB. offset
_buffer_load_b64 v[8:9], v6, s[sgprSrdC:sgprSrdC+3], 0, offen offset:0,  sc0 sc1 // load C for beta calc
_v_add_lshl_u32 v6, v3, v0, 0x3                    // scaleToBpe: accumulate d0 lower and *= bpe into Cin addr
v_cndmask_b32 v6, -1, v6, s[58:59]                 // LDD clip if OOB. offset
/* (d1,vc1,d0,vc0)=(6,0,0,1) */
_v_add_co_u32 v4, vcc, v0, 1                       // coord0.1: coord0 += d0*sg0*VW + vc0
v_cmp_lt_u32 s[54:55], v4, s[sgprSizeI]            // coord0 < size0
v_cmp_lt_u32 s[58:59], v1, s[sgprSizeJ]            // coord1 < size1
s_and_b64 s[58:59], s[54:55], s[58:59]             // in0 && in1
_v_add_lshl_u32 v7, v2, v4, 0x3                    // scaleToBpe: accumulate d0 lower and *= bpe into Cin addr
v_cndmask_b32 v7, -1, v7, s[58:59]                 // LDC clip if OOB. offset
_buffer_load_b64 v[12:13], v7, s[sgprSrdC:sgprSrdC+3], 0, offen offset:0,  sc0 sc1 // load C for beta calc
_v_add_lshl_u32 v7, v3, v4, 0x3                    // scaleToBpe: accumulate d0 lower and *= bpe into Cin addr
v_cndmask_b32 v7, -1, v7, s[58:59]                 // LDD clip if OOB. offset
/* (d1,vc1,d0,vc0)=(7,0,0,0) */
_v_add_co_u32 v1, vcc, v1, 4                       // coord1.1: coord1Vgpr += d1*sg1*VW + vc1

/* Fix for UseInitialStridesCD, emitAddressSetupCode */
s_mul_i32 s54, s[sgprStrideC1J], 4                 // scale stride
_v_add_u32 v2, v2, s54                             // ROWINC- Move cinRowPtr to next row
s_mul_i32 s54, s[sgprStrideD1J], 4                 // scale stride
_v_add_u32 v3, v3, s54                             // Move coutRowPtr to next row
v_cmp_lt_u32 s[54:55], v0, s[sgprSizeI]            // coord0 < size0
v_cmp_lt_u32 s[58:59], v1, s[sgprSizeJ]            // coord1 < size1
s_and_b64 s[58:59], s[54:55], s[58:59]             // in0 && in1
_v_add_lshl_u32 v16, v2, v0, 0x3                   // scaleToBpe: accumulate d0 lower and *= bpe into Cin addr
v_cndmask_b32 v16, -1, v16, s[58:59]               // LDC clip if OOB. offset
_buffer_load_b64 v[18:19], v16, s[sgprSrdC:sgprSrdC+3], 0, offen offset:0,  sc0 sc1 // load C for beta calc
_v_add_lshl_u32 v16, v3, v0, 0x3                   // scaleToBpe: accumulate d0 lower and *= bpe into Cin addr
v_cndmask_b32 v16, -1, v16, s[58:59]               // LDD clip if OOB. offset
/* (d1,vc1,d0,vc0)=(7,0,0,1) */
_v_add_co_u32 v4, vcc, v0, 1                       // coord0.1: coord0 += d0*sg0*VW + vc0
v_cmp_lt_u32 s[54:55], v4, s[sgprSizeI]            // coord0 < size0
v_cmp_lt_u32 s[58:59], v1, s[sgprSizeJ]            // coord1 < size1
s_and_b64 s[58:59], s[54:55], s[58:59]             // in0 && in1
_v_add_lshl_u32 v17, v2, v4, 0x3                   // scaleToBpe: accumulate d0 lower and *= bpe into Cin addr
v_cndmask_b32 v17, -1, v17, s[58:59]               // LDC clip if OOB. offset
_buffer_load_b64 v[22:23], v17, s[sgprSrdC:sgprSrdC+3], 0, offen offset:0,  sc0 sc1 // load C for beta calc
_v_add_lshl_u32 v17, v3, v4, 0x3                   // scaleToBpe: accumulate d0 lower and *= bpe into Cin addr
v_cndmask_b32 v17, -1, v17, s[58:59]               // LDD clip if OOB. offset
v_accvgpr_read_b32 v[vgprValuC+10], acc20 // copy acc to vreg[24]
v_accvgpr_read_b32 v[vgprValuC+11], acc21 // copy acc to vreg[25]
v_accvgpr_read_b32 v[vgprValuC+14], acc28 // copy acc to vreg[26]
v_accvgpr_read_b32 v[vgprValuC+15], acc29 // copy acc to vreg[27]
v_accvgpr_read_b32 v[vgprValuC+20], acc22 // copy acc to vreg[28]
v_accvgpr_read_b32 v[vgprValuC+21], acc23 // copy acc to vreg[29]
v_accvgpr_read_b32 v[vgprValuC+24], acc30 // copy acc to vreg[30]
v_accvgpr_read_b32 v[vgprValuC+25], acc31 // copy acc to vreg[31]
s_nop 1                                            // 2 wait states required before reading vgpr

/* rC *= alpha batchElements=[(6, 0, 0, 0), (6, 0, 0, 1), (7, 0, 0, 0), (7, 0, 0, 1)] */
v_mul_f64 v[vgprValuC+10:vgprValuC+10+1], s[sgprAlpha:sgprAlpha+1], v[vgprValuC+10:vgprValuC+10+1] // *= alpha
v_mul_f64 v[vgprValuC+14:vgprValuC+14+1], s[sgprAlpha:sgprAlpha+1], v[vgprValuC+14:vgprValuC+14+1] // *= alpha
	;; [unrolled: 1-line block ×4, first 2 shown]
s_waitcnt vmcnt(0)                                 // wait C

/* apply mask, calc new C and issue writes */
v_fma_f64 v[vgprValuC+10:vgprValuC+10+1], v[8:9], s[sgprBeta:sgprBeta+1], v[vgprValuC+10:vgprValuC+10+1] // finalSum = sum*alpha + C*beta
_buffer_store_b64 v[10:11], v6, s[sgprSrdD:sgprSrdD+3], 0, offen, offset:0,  sc0 sc1 // store D
v_fma_f64 v[vgprValuC+14:vgprValuC+14+1], v[12:13], s[sgprBeta:sgprBeta+1], v[vgprValuC+14:vgprValuC+14+1] // finalSum = sum*alpha + C*beta
_buffer_store_b64 v[14:15], v7, s[sgprSrdD:sgprSrdD+3], 0, offen, offset:0,  sc0 sc1 // store D
	;; [unrolled: 2-line block ×4, first 2 shown]
s_nop 0                                            // 1 wait state required when next inst writes vgprs held by previous dwordx4 store inst
/* optSingleColVgpr=0 optSharedColVgpr=0 optSGPRUsage=BufferLoad_Edge_Mask optSrdIncForRow=0 */

/******************************************/
/* Global Write Alpha Beta Edge Batch #4 (d1,d0,vc1,vc0) = */
/*    (8,0,0,0:vw1); (8,0,0,1:vw1); (9,0,0,0:vw1); (9,0,0,1:vw1) */
/******************************************/

/* calc coords, apply mask, and issue loads (if necessary) */
/* (d1,vc1,d0,vc0)=(8,0,0,0) */
_v_add_co_u32 v1, vcc, v1, 4                       // coord1.1: coord1Vgpr += d1*sg1*VW + vc1

/* Fix for UseInitialStridesCD, emitAddressSetupCode */
s_mul_i32 s54, s[sgprStrideC1J], 4                 // scale stride
_v_add_u32 v2, v2, s54                             // ROWINC- Move cinRowPtr to next row
s_mul_i32 s54, s[sgprStrideD1J], 4                 // scale stride
_v_add_u32 v3, v3, s54                             // Move coutRowPtr to next row
v_cmp_lt_u32 s[54:55], v0, s[sgprSizeI]            // coord0 < size0
v_cmp_lt_u32 s[58:59], v1, s[sgprSizeJ]            // coord1 < size1
s_and_b64 s[58:59], s[54:55], s[58:59]             // in0 && in1
_v_add_lshl_u32 v6, v2, v0, 0x3                    // scaleToBpe: accumulate d0 lower and *= bpe into Cin addr
v_cndmask_b32 v6, -1, v6, s[58:59]                 // LDC clip if OOB. offset
_buffer_load_b64 v[8:9], v6, s[sgprSrdC:sgprSrdC+3], 0, offen offset:0,  sc0 sc1 // load C for beta calc
_v_add_lshl_u32 v6, v3, v0, 0x3                    // scaleToBpe: accumulate d0 lower and *= bpe into Cin addr
v_cndmask_b32 v6, -1, v6, s[58:59]                 // LDD clip if OOB. offset
/* (d1,vc1,d0,vc0)=(8,0,0,1) */
_v_add_co_u32 v4, vcc, v0, 1                       // coord0.1: coord0 += d0*sg0*VW + vc0
v_cmp_lt_u32 s[54:55], v4, s[sgprSizeI]            // coord0 < size0
v_cmp_lt_u32 s[58:59], v1, s[sgprSizeJ]            // coord1 < size1
s_and_b64 s[58:59], s[54:55], s[58:59]             // in0 && in1
_v_add_lshl_u32 v7, v2, v4, 0x3                    // scaleToBpe: accumulate d0 lower and *= bpe into Cin addr
v_cndmask_b32 v7, -1, v7, s[58:59]                 // LDC clip if OOB. offset
_buffer_load_b64 v[12:13], v7, s[sgprSrdC:sgprSrdC+3], 0, offen offset:0,  sc0 sc1 // load C for beta calc
_v_add_lshl_u32 v7, v3, v4, 0x3                    // scaleToBpe: accumulate d0 lower and *= bpe into Cin addr
v_cndmask_b32 v7, -1, v7, s[58:59]                 // LDD clip if OOB. offset
/* (d1,vc1,d0,vc0)=(9,0,0,0) */
_v_add_co_u32 v1, vcc, v1, 4                       // coord1.1: coord1Vgpr += d1*sg1*VW + vc1

/* Fix for UseInitialStridesCD, emitAddressSetupCode */
s_mul_i32 s54, s[sgprStrideC1J], 4                 // scale stride
_v_add_u32 v2, v2, s54                             // ROWINC- Move cinRowPtr to next row
s_mul_i32 s54, s[sgprStrideD1J], 4                 // scale stride
_v_add_u32 v3, v3, s54                             // Move coutRowPtr to next row
v_cmp_lt_u32 s[54:55], v0, s[sgprSizeI]            // coord0 < size0
v_cmp_lt_u32 s[58:59], v1, s[sgprSizeJ]            // coord1 < size1
s_and_b64 s[58:59], s[54:55], s[58:59]             // in0 && in1
_v_add_lshl_u32 v16, v2, v0, 0x3                   // scaleToBpe: accumulate d0 lower and *= bpe into Cin addr
v_cndmask_b32 v16, -1, v16, s[58:59]               // LDC clip if OOB. offset
_buffer_load_b64 v[18:19], v16, s[sgprSrdC:sgprSrdC+3], 0, offen offset:0,  sc0 sc1 // load C for beta calc
_v_add_lshl_u32 v16, v3, v0, 0x3                   // scaleToBpe: accumulate d0 lower and *= bpe into Cin addr
v_cndmask_b32 v16, -1, v16, s[58:59]               // LDD clip if OOB. offset
/* (d1,vc1,d0,vc0)=(9,0,0,1) */
_v_add_co_u32 v4, vcc, v0, 1                       // coord0.1: coord0 += d0*sg0*VW + vc0
v_cmp_lt_u32 s[54:55], v4, s[sgprSizeI]            // coord0 < size0
v_cmp_lt_u32 s[58:59], v1, s[sgprSizeJ]            // coord1 < size1
s_and_b64 s[58:59], s[54:55], s[58:59]             // in0 && in1
_v_add_lshl_u32 v17, v2, v4, 0x3                   // scaleToBpe: accumulate d0 lower and *= bpe into Cin addr
v_cndmask_b32 v17, -1, v17, s[58:59]               // LDC clip if OOB. offset
_buffer_load_b64 v[22:23], v17, s[sgprSrdC:sgprSrdC+3], 0, offen offset:0,  sc0 sc1 // load C for beta calc
_v_add_lshl_u32 v17, v3, v4, 0x3                   // scaleToBpe: accumulate d0 lower and *= bpe into Cin addr
v_cndmask_b32 v17, -1, v17, s[58:59]               // LDD clip if OOB. offset
v_accvgpr_read_b32 v[vgprValuC+10], acc32 // copy acc to vreg[32]
v_accvgpr_read_b32 v[vgprValuC+11], acc33 // copy acc to vreg[33]
v_accvgpr_read_b32 v[vgprValuC+14], acc40 // copy acc to vreg[34]
v_accvgpr_read_b32 v[vgprValuC+15], acc41 // copy acc to vreg[35]
v_accvgpr_read_b32 v[vgprValuC+20], acc34 // copy acc to vreg[36]
v_accvgpr_read_b32 v[vgprValuC+21], acc35 // copy acc to vreg[37]
v_accvgpr_read_b32 v[vgprValuC+24], acc42 // copy acc to vreg[38]
v_accvgpr_read_b32 v[vgprValuC+25], acc43 // copy acc to vreg[39]
s_nop 1                                            // 2 wait states required before reading vgpr

/* rC *= alpha batchElements=[(8, 0, 0, 0), (8, 0, 0, 1), (9, 0, 0, 0), (9, 0, 0, 1)] */
v_mul_f64 v[vgprValuC+10:vgprValuC+10+1], s[sgprAlpha:sgprAlpha+1], v[vgprValuC+10:vgprValuC+10+1] // *= alpha
v_mul_f64 v[vgprValuC+14:vgprValuC+14+1], s[sgprAlpha:sgprAlpha+1], v[vgprValuC+14:vgprValuC+14+1] // *= alpha
	;; [unrolled: 1-line block ×4, first 2 shown]
s_waitcnt vmcnt(0)                                 // wait C

/* apply mask, calc new C and issue writes */
v_fma_f64 v[vgprValuC+10:vgprValuC+10+1], v[8:9], s[sgprBeta:sgprBeta+1], v[vgprValuC+10:vgprValuC+10+1] // finalSum = sum*alpha + C*beta
_buffer_store_b64 v[10:11], v6, s[sgprSrdD:sgprSrdD+3], 0, offen, offset:0,  sc0 sc1 // store D
v_fma_f64 v[vgprValuC+14:vgprValuC+14+1], v[12:13], s[sgprBeta:sgprBeta+1], v[vgprValuC+14:vgprValuC+14+1] // finalSum = sum*alpha + C*beta
_buffer_store_b64 v[14:15], v7, s[sgprSrdD:sgprSrdD+3], 0, offen, offset:0,  sc0 sc1 // store D
	;; [unrolled: 2-line block ×4, first 2 shown]
s_nop 0                                            // 1 wait state required when next inst writes vgprs held by previous dwordx4 store inst
/* optSingleColVgpr=0 optSharedColVgpr=0 optSGPRUsage=BufferLoad_Edge_Mask optSrdIncForRow=0 */

/******************************************/
/* Global Write Alpha Beta Edge Batch #5 (d1,d0,vc1,vc0) = */
/*    (10,0,0,0:vw1); (10,0,0,1:vw1); (11,0,0,0:vw1); (11,0,0,1:vw1) */
/******************************************/

/* calc coords, apply mask, and issue loads (if necessary) */
/* (d1,vc1,d0,vc0)=(10,0,0,0) */
_v_add_co_u32 v1, vcc, v1, 4                       // coord1.1: coord1Vgpr += d1*sg1*VW + vc1

/* Fix for UseInitialStridesCD, emitAddressSetupCode */
s_mul_i32 s54, s[sgprStrideC1J], 4                 // scale stride
_v_add_u32 v2, v2, s54                             // ROWINC- Move cinRowPtr to next row
s_mul_i32 s54, s[sgprStrideD1J], 4                 // scale stride
_v_add_u32 v3, v3, s54                             // Move coutRowPtr to next row
v_cmp_lt_u32 s[54:55], v0, s[sgprSizeI]            // coord0 < size0
v_cmp_lt_u32 s[58:59], v1, s[sgprSizeJ]            // coord1 < size1
s_and_b64 s[58:59], s[54:55], s[58:59]             // in0 && in1
_v_add_lshl_u32 v6, v2, v0, 0x3                    // scaleToBpe: accumulate d0 lower and *= bpe into Cin addr
v_cndmask_b32 v6, -1, v6, s[58:59]                 // LDC clip if OOB. offset
_buffer_load_b64 v[8:9], v6, s[sgprSrdC:sgprSrdC+3], 0, offen offset:0,  sc0 sc1 // load C for beta calc
_v_add_lshl_u32 v6, v3, v0, 0x3                    // scaleToBpe: accumulate d0 lower and *= bpe into Cin addr
v_cndmask_b32 v6, -1, v6, s[58:59]                 // LDD clip if OOB. offset
/* (d1,vc1,d0,vc0)=(10,0,0,1) */
_v_add_co_u32 v4, vcc, v0, 1                       // coord0.1: coord0 += d0*sg0*VW + vc0
v_cmp_lt_u32 s[54:55], v4, s[sgprSizeI]            // coord0 < size0
v_cmp_lt_u32 s[58:59], v1, s[sgprSizeJ]            // coord1 < size1
s_and_b64 s[58:59], s[54:55], s[58:59]             // in0 && in1
_v_add_lshl_u32 v7, v2, v4, 0x3                    // scaleToBpe: accumulate d0 lower and *= bpe into Cin addr
v_cndmask_b32 v7, -1, v7, s[58:59]                 // LDC clip if OOB. offset
_buffer_load_b64 v[12:13], v7, s[sgprSrdC:sgprSrdC+3], 0, offen offset:0,  sc0 sc1 // load C for beta calc
_v_add_lshl_u32 v7, v3, v4, 0x3                    // scaleToBpe: accumulate d0 lower and *= bpe into Cin addr
v_cndmask_b32 v7, -1, v7, s[58:59]                 // LDD clip if OOB. offset
/* (d1,vc1,d0,vc0)=(11,0,0,0) */
_v_add_co_u32 v1, vcc, v1, 4                       // coord1.1: coord1Vgpr += d1*sg1*VW + vc1

/* Fix for UseInitialStridesCD, emitAddressSetupCode */
s_mul_i32 s54, s[sgprStrideC1J], 4                 // scale stride
_v_add_u32 v2, v2, s54                             // ROWINC- Move cinRowPtr to next row
s_mul_i32 s54, s[sgprStrideD1J], 4                 // scale stride
_v_add_u32 v3, v3, s54                             // Move coutRowPtr to next row
v_cmp_lt_u32 s[54:55], v0, s[sgprSizeI]            // coord0 < size0
v_cmp_lt_u32 s[58:59], v1, s[sgprSizeJ]            // coord1 < size1
s_and_b64 s[58:59], s[54:55], s[58:59]             // in0 && in1
_v_add_lshl_u32 v16, v2, v0, 0x3                   // scaleToBpe: accumulate d0 lower and *= bpe into Cin addr
v_cndmask_b32 v16, -1, v16, s[58:59]               // LDC clip if OOB. offset
_buffer_load_b64 v[18:19], v16, s[sgprSrdC:sgprSrdC+3], 0, offen offset:0,  sc0 sc1 // load C for beta calc
_v_add_lshl_u32 v16, v3, v0, 0x3                   // scaleToBpe: accumulate d0 lower and *= bpe into Cin addr
v_cndmask_b32 v16, -1, v16, s[58:59]               // LDD clip if OOB. offset
/* (d1,vc1,d0,vc0)=(11,0,0,1) */
_v_add_co_u32 v4, vcc, v0, 1                       // coord0.1: coord0 += d0*sg0*VW + vc0
v_cmp_lt_u32 s[54:55], v4, s[sgprSizeI]            // coord0 < size0
v_cmp_lt_u32 s[58:59], v1, s[sgprSizeJ]            // coord1 < size1
s_and_b64 s[58:59], s[54:55], s[58:59]             // in0 && in1
_v_add_lshl_u32 v17, v2, v4, 0x3                   // scaleToBpe: accumulate d0 lower and *= bpe into Cin addr
v_cndmask_b32 v17, -1, v17, s[58:59]               // LDC clip if OOB. offset
_buffer_load_b64 v[22:23], v17, s[sgprSrdC:sgprSrdC+3], 0, offen offset:0,  sc0 sc1 // load C for beta calc
_v_add_lshl_u32 v17, v3, v4, 0x3                   // scaleToBpe: accumulate d0 lower and *= bpe into Cin addr
v_cndmask_b32 v17, -1, v17, s[58:59]               // LDD clip if OOB. offset
v_accvgpr_read_b32 v[vgprValuC+10], acc36 // copy acc to vreg[40]
v_accvgpr_read_b32 v[vgprValuC+11], acc37 // copy acc to vreg[41]
v_accvgpr_read_b32 v[vgprValuC+14], acc44 // copy acc to vreg[42]
v_accvgpr_read_b32 v[vgprValuC+15], acc45 // copy acc to vreg[43]
v_accvgpr_read_b32 v[vgprValuC+20], acc38 // copy acc to vreg[44]
v_accvgpr_read_b32 v[vgprValuC+21], acc39 // copy acc to vreg[45]
v_accvgpr_read_b32 v[vgprValuC+24], acc46 // copy acc to vreg[46]
v_accvgpr_read_b32 v[vgprValuC+25], acc47 // copy acc to vreg[47]
s_nop 1                                            // 2 wait states required before reading vgpr

/* rC *= alpha batchElements=[(10, 0, 0, 0), (10, 0, 0, 1), (11, 0, 0, 0), (11, 0, 0, 1)] */
v_mul_f64 v[vgprValuC+10:vgprValuC+10+1], s[sgprAlpha:sgprAlpha+1], v[vgprValuC+10:vgprValuC+10+1] // *= alpha
v_mul_f64 v[vgprValuC+14:vgprValuC+14+1], s[sgprAlpha:sgprAlpha+1], v[vgprValuC+14:vgprValuC+14+1] // *= alpha
	;; [unrolled: 1-line block ×4, first 2 shown]
s_waitcnt vmcnt(0)                                 // wait C

/* apply mask, calc new C and issue writes */
v_fma_f64 v[vgprValuC+10:vgprValuC+10+1], v[8:9], s[sgprBeta:sgprBeta+1], v[vgprValuC+10:vgprValuC+10+1] // finalSum = sum*alpha + C*beta
_buffer_store_b64 v[10:11], v6, s[sgprSrdD:sgprSrdD+3], 0, offen, offset:0,  sc0 sc1 // store D
v_fma_f64 v[vgprValuC+14:vgprValuC+14+1], v[12:13], s[sgprBeta:sgprBeta+1], v[vgprValuC+14:vgprValuC+14+1] // finalSum = sum*alpha + C*beta
_buffer_store_b64 v[14:15], v7, s[sgprSrdD:sgprSrdD+3], 0, offen, offset:0,  sc0 sc1 // store D
	;; [unrolled: 2-line block ×4, first 2 shown]
s_nop 0                                            // 1 wait state required when next inst writes vgprs held by previous dwordx4 store inst
/* optSingleColVgpr=0 optSharedColVgpr=0 optSGPRUsage=BufferLoad_Edge_Mask optSrdIncForRow=0 */

/******************************************/
/* Global Write Alpha Beta Edge Batch #6 (d1,d0,vc1,vc0) = */
/*    (12,0,0,0:vw1); (12,0,0,1:vw1); (13,0,0,0:vw1); (13,0,0,1:vw1) */
/******************************************/

/* calc coords, apply mask, and issue loads (if necessary) */
/* (d1,vc1,d0,vc0)=(12,0,0,0) */
_v_add_co_u32 v1, vcc, v1, 4                       // coord1.1: coord1Vgpr += d1*sg1*VW + vc1

/* Fix for UseInitialStridesCD, emitAddressSetupCode */
s_mul_i32 s54, s[sgprStrideC1J], 4                 // scale stride
_v_add_u32 v2, v2, s54                             // ROWINC- Move cinRowPtr to next row
s_mul_i32 s54, s[sgprStrideD1J], 4                 // scale stride
_v_add_u32 v3, v3, s54                             // Move coutRowPtr to next row
v_cmp_lt_u32 s[54:55], v0, s[sgprSizeI]            // coord0 < size0
v_cmp_lt_u32 s[58:59], v1, s[sgprSizeJ]            // coord1 < size1
s_and_b64 s[58:59], s[54:55], s[58:59]             // in0 && in1
_v_add_lshl_u32 v6, v2, v0, 0x3                    // scaleToBpe: accumulate d0 lower and *= bpe into Cin addr
v_cndmask_b32 v6, -1, v6, s[58:59]                 // LDC clip if OOB. offset
_buffer_load_b64 v[8:9], v6, s[sgprSrdC:sgprSrdC+3], 0, offen offset:0,  sc0 sc1 // load C for beta calc
_v_add_lshl_u32 v6, v3, v0, 0x3                    // scaleToBpe: accumulate d0 lower and *= bpe into Cin addr
v_cndmask_b32 v6, -1, v6, s[58:59]                 // LDD clip if OOB. offset
/* (d1,vc1,d0,vc0)=(12,0,0,1) */
_v_add_co_u32 v4, vcc, v0, 1                       // coord0.1: coord0 += d0*sg0*VW + vc0
v_cmp_lt_u32 s[54:55], v4, s[sgprSizeI]            // coord0 < size0
v_cmp_lt_u32 s[58:59], v1, s[sgprSizeJ]            // coord1 < size1
s_and_b64 s[58:59], s[54:55], s[58:59]             // in0 && in1
_v_add_lshl_u32 v7, v2, v4, 0x3                    // scaleToBpe: accumulate d0 lower and *= bpe into Cin addr
v_cndmask_b32 v7, -1, v7, s[58:59]                 // LDC clip if OOB. offset
_buffer_load_b64 v[12:13], v7, s[sgprSrdC:sgprSrdC+3], 0, offen offset:0,  sc0 sc1 // load C for beta calc
_v_add_lshl_u32 v7, v3, v4, 0x3                    // scaleToBpe: accumulate d0 lower and *= bpe into Cin addr
v_cndmask_b32 v7, -1, v7, s[58:59]                 // LDD clip if OOB. offset
/* (d1,vc1,d0,vc0)=(13,0,0,0) */
_v_add_co_u32 v1, vcc, v1, 4                       // coord1.1: coord1Vgpr += d1*sg1*VW + vc1

/* Fix for UseInitialStridesCD, emitAddressSetupCode */
s_mul_i32 s54, s[sgprStrideC1J], 4                 // scale stride
_v_add_u32 v2, v2, s54                             // ROWINC- Move cinRowPtr to next row
s_mul_i32 s54, s[sgprStrideD1J], 4                 // scale stride
_v_add_u32 v3, v3, s54                             // Move coutRowPtr to next row
v_cmp_lt_u32 s[54:55], v0, s[sgprSizeI]            // coord0 < size0
v_cmp_lt_u32 s[58:59], v1, s[sgprSizeJ]            // coord1 < size1
s_and_b64 s[58:59], s[54:55], s[58:59]             // in0 && in1
_v_add_lshl_u32 v16, v2, v0, 0x3                   // scaleToBpe: accumulate d0 lower and *= bpe into Cin addr
v_cndmask_b32 v16, -1, v16, s[58:59]               // LDC clip if OOB. offset
_buffer_load_b64 v[18:19], v16, s[sgprSrdC:sgprSrdC+3], 0, offen offset:0,  sc0 sc1 // load C for beta calc
_v_add_lshl_u32 v16, v3, v0, 0x3                   // scaleToBpe: accumulate d0 lower and *= bpe into Cin addr
v_cndmask_b32 v16, -1, v16, s[58:59]               // LDD clip if OOB. offset
/* (d1,vc1,d0,vc0)=(13,0,0,1) */
_v_add_co_u32 v4, vcc, v0, 1                       // coord0.1: coord0 += d0*sg0*VW + vc0
v_cmp_lt_u32 s[54:55], v4, s[sgprSizeI]            // coord0 < size0
v_cmp_lt_u32 s[58:59], v1, s[sgprSizeJ]            // coord1 < size1
s_and_b64 s[58:59], s[54:55], s[58:59]             // in0 && in1
_v_add_lshl_u32 v17, v2, v4, 0x3                   // scaleToBpe: accumulate d0 lower and *= bpe into Cin addr
v_cndmask_b32 v17, -1, v17, s[58:59]               // LDC clip if OOB. offset
_buffer_load_b64 v[22:23], v17, s[sgprSrdC:sgprSrdC+3], 0, offen offset:0,  sc0 sc1 // load C for beta calc
_v_add_lshl_u32 v17, v3, v4, 0x3                   // scaleToBpe: accumulate d0 lower and *= bpe into Cin addr
v_cndmask_b32 v17, -1, v17, s[58:59]               // LDD clip if OOB. offset
v_accvgpr_read_b32 v[vgprValuC+10], acc48 // copy acc to vreg[48]
v_accvgpr_read_b32 v[vgprValuC+11], acc49 // copy acc to vreg[49]
v_accvgpr_read_b32 v[vgprValuC+14], acc56 // copy acc to vreg[50]
v_accvgpr_read_b32 v[vgprValuC+15], acc57 // copy acc to vreg[51]
v_accvgpr_read_b32 v[vgprValuC+20], acc50 // copy acc to vreg[52]
v_accvgpr_read_b32 v[vgprValuC+21], acc51 // copy acc to vreg[53]
v_accvgpr_read_b32 v[vgprValuC+24], acc58 // copy acc to vreg[54]
v_accvgpr_read_b32 v[vgprValuC+25], acc59 // copy acc to vreg[55]
s_nop 1                                            // 2 wait states required before reading vgpr

/* rC *= alpha batchElements=[(12, 0, 0, 0), (12, 0, 0, 1), (13, 0, 0, 0), (13, 0, 0, 1)] */
v_mul_f64 v[vgprValuC+10:vgprValuC+10+1], s[sgprAlpha:sgprAlpha+1], v[vgprValuC+10:vgprValuC+10+1] // *= alpha
v_mul_f64 v[vgprValuC+14:vgprValuC+14+1], s[sgprAlpha:sgprAlpha+1], v[vgprValuC+14:vgprValuC+14+1] // *= alpha
	;; [unrolled: 1-line block ×4, first 2 shown]
s_waitcnt vmcnt(0)                                 // wait C

/* apply mask, calc new C and issue writes */
v_fma_f64 v[vgprValuC+10:vgprValuC+10+1], v[8:9], s[sgprBeta:sgprBeta+1], v[vgprValuC+10:vgprValuC+10+1] // finalSum = sum*alpha + C*beta
_buffer_store_b64 v[10:11], v6, s[sgprSrdD:sgprSrdD+3], 0, offen, offset:0,  sc0 sc1 // store D
v_fma_f64 v[vgprValuC+14:vgprValuC+14+1], v[12:13], s[sgprBeta:sgprBeta+1], v[vgprValuC+14:vgprValuC+14+1] // finalSum = sum*alpha + C*beta
_buffer_store_b64 v[14:15], v7, s[sgprSrdD:sgprSrdD+3], 0, offen, offset:0,  sc0 sc1 // store D
	;; [unrolled: 2-line block ×4, first 2 shown]
s_nop 0                                            // 1 wait state required when next inst writes vgprs held by previous dwordx4 store inst
/* optSingleColVgpr=0 optSharedColVgpr=0 optSGPRUsage=BufferLoad_Edge_Mask optSrdIncForRow=0 */

/******************************************/
/* Global Write Alpha Beta Edge Batch #7 (d1,d0,vc1,vc0) = */
/*    (14,0,0,0:vw1); (14,0,0,1:vw1); (15,0,0,0:vw1); (15,0,0,1:vw1) */
/******************************************/

/* calc coords, apply mask, and issue loads (if necessary) */
/* (d1,vc1,d0,vc0)=(14,0,0,0) */
_v_add_co_u32 v1, vcc, v1, 4                       // coord1.1: coord1Vgpr += d1*sg1*VW + vc1

/* Fix for UseInitialStridesCD, emitAddressSetupCode */
s_mul_i32 s54, s[sgprStrideC1J], 4                 // scale stride
_v_add_u32 v2, v2, s54                             // ROWINC- Move cinRowPtr to next row
s_mul_i32 s54, s[sgprStrideD1J], 4                 // scale stride
_v_add_u32 v3, v3, s54                             // Move coutRowPtr to next row
v_cmp_lt_u32 s[54:55], v0, s[sgprSizeI]            // coord0 < size0
v_cmp_lt_u32 s[58:59], v1, s[sgprSizeJ]            // coord1 < size1
s_and_b64 s[58:59], s[54:55], s[58:59]             // in0 && in1
_v_add_lshl_u32 v6, v2, v0, 0x3                    // scaleToBpe: accumulate d0 lower and *= bpe into Cin addr
v_cndmask_b32 v6, -1, v6, s[58:59]                 // LDC clip if OOB. offset
_buffer_load_b64 v[8:9], v6, s[sgprSrdC:sgprSrdC+3], 0, offen offset:0,  sc0 sc1 // load C for beta calc
_v_add_lshl_u32 v6, v3, v0, 0x3                    // scaleToBpe: accumulate d0 lower and *= bpe into Cin addr
v_cndmask_b32 v6, -1, v6, s[58:59]                 // LDD clip if OOB. offset
/* (d1,vc1,d0,vc0)=(14,0,0,1) */
_v_add_co_u32 v4, vcc, v0, 1                       // coord0.1: coord0 += d0*sg0*VW + vc0
v_cmp_lt_u32 s[54:55], v4, s[sgprSizeI]            // coord0 < size0
v_cmp_lt_u32 s[58:59], v1, s[sgprSizeJ]            // coord1 < size1
s_and_b64 s[58:59], s[54:55], s[58:59]             // in0 && in1
_v_add_lshl_u32 v7, v2, v4, 0x3                    // scaleToBpe: accumulate d0 lower and *= bpe into Cin addr
v_cndmask_b32 v7, -1, v7, s[58:59]                 // LDC clip if OOB. offset
_buffer_load_b64 v[12:13], v7, s[sgprSrdC:sgprSrdC+3], 0, offen offset:0,  sc0 sc1 // load C for beta calc
_v_add_lshl_u32 v7, v3, v4, 0x3                    // scaleToBpe: accumulate d0 lower and *= bpe into Cin addr
v_cndmask_b32 v7, -1, v7, s[58:59]                 // LDD clip if OOB. offset
/* (d1,vc1,d0,vc0)=(15,0,0,0) */
_v_add_co_u32 v1, vcc, v1, 4                       // coord1.1: coord1Vgpr += d1*sg1*VW + vc1

/* Fix for UseInitialStridesCD, emitAddressSetupCode */
s_mul_i32 s54, s[sgprStrideC1J], 4                 // scale stride
_v_add_u32 v2, v2, s54                             // ROWINC- Move cinRowPtr to next row
s_mul_i32 s54, s[sgprStrideD1J], 4                 // scale stride
_v_add_u32 v3, v3, s54                             // Move coutRowPtr to next row
v_cmp_lt_u32 s[54:55], v0, s[sgprSizeI]            // coord0 < size0
v_cmp_lt_u32 s[58:59], v1, s[sgprSizeJ]            // coord1 < size1
s_and_b64 s[58:59], s[54:55], s[58:59]             // in0 && in1
_v_add_lshl_u32 v16, v2, v0, 0x3                   // scaleToBpe: accumulate d0 lower and *= bpe into Cin addr
v_cndmask_b32 v16, -1, v16, s[58:59]               // LDC clip if OOB. offset
_buffer_load_b64 v[18:19], v16, s[sgprSrdC:sgprSrdC+3], 0, offen offset:0,  sc0 sc1 // load C for beta calc
_v_add_lshl_u32 v16, v3, v0, 0x3                   // scaleToBpe: accumulate d0 lower and *= bpe into Cin addr
v_cndmask_b32 v16, -1, v16, s[58:59]               // LDD clip if OOB. offset
/* (d1,vc1,d0,vc0)=(15,0,0,1) */
_v_add_co_u32 v4, vcc, v0, 1                       // coord0.1: coord0 += d0*sg0*VW + vc0
v_cmp_lt_u32 s[54:55], v4, s[sgprSizeI]            // coord0 < size0
v_cmp_lt_u32 s[58:59], v1, s[sgprSizeJ]            // coord1 < size1
s_and_b64 s[58:59], s[54:55], s[58:59]             // in0 && in1
_v_add_lshl_u32 v17, v2, v4, 0x3                   // scaleToBpe: accumulate d0 lower and *= bpe into Cin addr
v_cndmask_b32 v17, -1, v17, s[58:59]               // LDC clip if OOB. offset
_buffer_load_b64 v[22:23], v17, s[sgprSrdC:sgprSrdC+3], 0, offen offset:0,  sc0 sc1 // load C for beta calc
_v_add_lshl_u32 v17, v3, v4, 0x3                   // scaleToBpe: accumulate d0 lower and *= bpe into Cin addr
v_cndmask_b32 v17, -1, v17, s[58:59]               // LDD clip if OOB. offset
v_accvgpr_read_b32 v[vgprValuC+10], acc52 // copy acc to vreg[56]
v_accvgpr_read_b32 v[vgprValuC+11], acc53 // copy acc to vreg[57]
v_accvgpr_read_b32 v[vgprValuC+14], acc60 // copy acc to vreg[58]
v_accvgpr_read_b32 v[vgprValuC+15], acc61 // copy acc to vreg[59]
v_accvgpr_read_b32 v[vgprValuC+20], acc54 // copy acc to vreg[60]
v_accvgpr_read_b32 v[vgprValuC+21], acc55 // copy acc to vreg[61]
v_accvgpr_read_b32 v[vgprValuC+24], acc62 // copy acc to vreg[62]
v_accvgpr_read_b32 v[vgprValuC+25], acc63 // copy acc to vreg[63]
s_nop 1                                            // 2 wait states required before reading vgpr

/* rC *= alpha batchElements=[(14, 0, 0, 0), (14, 0, 0, 1), (15, 0, 0, 0), (15, 0, 0, 1)] */
v_mul_f64 v[vgprValuC+10:vgprValuC+10+1], s[sgprAlpha:sgprAlpha+1], v[vgprValuC+10:vgprValuC+10+1] // *= alpha
v_mul_f64 v[vgprValuC+14:vgprValuC+14+1], s[sgprAlpha:sgprAlpha+1], v[vgprValuC+14:vgprValuC+14+1] // *= alpha
	;; [unrolled: 1-line block ×4, first 2 shown]
s_waitcnt vmcnt(0)                                 // wait C

/* apply mask, calc new C and issue writes */
v_fma_f64 v[vgprValuC+10:vgprValuC+10+1], v[8:9], s[sgprBeta:sgprBeta+1], v[vgprValuC+10:vgprValuC+10+1] // finalSum = sum*alpha + C*beta
_buffer_store_b64 v[10:11], v6, s[sgprSrdD:sgprSrdD+3], 0, offen, offset:0,  sc0 sc1 // store D
v_fma_f64 v[vgprValuC+14:vgprValuC+14+1], v[12:13], s[sgprBeta:sgprBeta+1], v[vgprValuC+14:vgprValuC+14+1] // finalSum = sum*alpha + C*beta
_buffer_store_b64 v[14:15], v7, s[sgprSrdD:sgprSrdD+3], 0, offen, offset:0,  sc0 sc1 // store D
	;; [unrolled: 2-line block ×4, first 2 shown]
s_nop 0                                            // 1 wait state required when next inst writes vgprs held by previous dwordx4 store inst
/* optSingleColVgpr=0 optSharedColVgpr=0 optSGPRUsage=BufferLoad_Edge_Mask optSrdIncForRow=0 */

/******************************************/
/* Global Write Alpha Beta Edge Batch #8 (d1,d0,vc1,vc0) = */
/*    (16,0,0,0:vw1); (16,0,0,1:vw1); (17,0,0,0:vw1); (17,0,0,1:vw1) */
/******************************************/

/* calc coords, apply mask, and issue loads (if necessary) */
/* (d1,vc1,d0,vc0)=(16,0,0,0) */
_v_add_co_u32 v1, vcc, v1, 4                       // coord1.1: coord1Vgpr += d1*sg1*VW + vc1

/* Fix for UseInitialStridesCD, emitAddressSetupCode */
s_mul_i32 s54, s[sgprStrideC1J], 4                 // scale stride
_v_add_u32 v2, v2, s54                             // ROWINC- Move cinRowPtr to next row
s_mul_i32 s54, s[sgprStrideD1J], 4                 // scale stride
_v_add_u32 v3, v3, s54                             // Move coutRowPtr to next row
v_cmp_lt_u32 s[54:55], v0, s[sgprSizeI]            // coord0 < size0
v_cmp_lt_u32 s[58:59], v1, s[sgprSizeJ]            // coord1 < size1
s_and_b64 s[58:59], s[54:55], s[58:59]             // in0 && in1
_v_add_lshl_u32 v6, v2, v0, 0x3                    // scaleToBpe: accumulate d0 lower and *= bpe into Cin addr
v_cndmask_b32 v6, -1, v6, s[58:59]                 // LDC clip if OOB. offset
_buffer_load_b64 v[8:9], v6, s[sgprSrdC:sgprSrdC+3], 0, offen offset:0,  sc0 sc1 // load C for beta calc
_v_add_lshl_u32 v6, v3, v0, 0x3                    // scaleToBpe: accumulate d0 lower and *= bpe into Cin addr
v_cndmask_b32 v6, -1, v6, s[58:59]                 // LDD clip if OOB. offset
/* (d1,vc1,d0,vc0)=(16,0,0,1) */
_v_add_co_u32 v4, vcc, v0, 1                       // coord0.1: coord0 += d0*sg0*VW + vc0
v_cmp_lt_u32 s[54:55], v4, s[sgprSizeI]            // coord0 < size0
v_cmp_lt_u32 s[58:59], v1, s[sgprSizeJ]            // coord1 < size1
s_and_b64 s[58:59], s[54:55], s[58:59]             // in0 && in1
_v_add_lshl_u32 v7, v2, v4, 0x3                    // scaleToBpe: accumulate d0 lower and *= bpe into Cin addr
v_cndmask_b32 v7, -1, v7, s[58:59]                 // LDC clip if OOB. offset
_buffer_load_b64 v[12:13], v7, s[sgprSrdC:sgprSrdC+3], 0, offen offset:0,  sc0 sc1 // load C for beta calc
_v_add_lshl_u32 v7, v3, v4, 0x3                    // scaleToBpe: accumulate d0 lower and *= bpe into Cin addr
v_cndmask_b32 v7, -1, v7, s[58:59]                 // LDD clip if OOB. offset
/* (d1,vc1,d0,vc0)=(17,0,0,0) */
_v_add_co_u32 v1, vcc, v1, 4                       // coord1.1: coord1Vgpr += d1*sg1*VW + vc1

/* Fix for UseInitialStridesCD, emitAddressSetupCode */
s_mul_i32 s54, s[sgprStrideC1J], 4                 // scale stride
_v_add_u32 v2, v2, s54                             // ROWINC- Move cinRowPtr to next row
s_mul_i32 s54, s[sgprStrideD1J], 4                 // scale stride
_v_add_u32 v3, v3, s54                             // Move coutRowPtr to next row
v_cmp_lt_u32 s[54:55], v0, s[sgprSizeI]            // coord0 < size0
v_cmp_lt_u32 s[58:59], v1, s[sgprSizeJ]            // coord1 < size1
s_and_b64 s[58:59], s[54:55], s[58:59]             // in0 && in1
_v_add_lshl_u32 v16, v2, v0, 0x3                   // scaleToBpe: accumulate d0 lower and *= bpe into Cin addr
v_cndmask_b32 v16, -1, v16, s[58:59]               // LDC clip if OOB. offset
_buffer_load_b64 v[18:19], v16, s[sgprSrdC:sgprSrdC+3], 0, offen offset:0,  sc0 sc1 // load C for beta calc
_v_add_lshl_u32 v16, v3, v0, 0x3                   // scaleToBpe: accumulate d0 lower and *= bpe into Cin addr
v_cndmask_b32 v16, -1, v16, s[58:59]               // LDD clip if OOB. offset
/* (d1,vc1,d0,vc0)=(17,0,0,1) */
_v_add_co_u32 v4, vcc, v0, 1                       // coord0.1: coord0 += d0*sg0*VW + vc0
v_cmp_lt_u32 s[54:55], v4, s[sgprSizeI]            // coord0 < size0
v_cmp_lt_u32 s[58:59], v1, s[sgprSizeJ]            // coord1 < size1
s_and_b64 s[58:59], s[54:55], s[58:59]             // in0 && in1
_v_add_lshl_u32 v17, v2, v4, 0x3                   // scaleToBpe: accumulate d0 lower and *= bpe into Cin addr
v_cndmask_b32 v17, -1, v17, s[58:59]               // LDC clip if OOB. offset
_buffer_load_b64 v[22:23], v17, s[sgprSrdC:sgprSrdC+3], 0, offen offset:0,  sc0 sc1 // load C for beta calc
_v_add_lshl_u32 v17, v3, v4, 0x3                   // scaleToBpe: accumulate d0 lower and *= bpe into Cin addr
v_cndmask_b32 v17, -1, v17, s[58:59]               // LDD clip if OOB. offset
v_accvgpr_read_b32 v[vgprValuC+10], acc64 // copy acc to vreg[64]
v_accvgpr_read_b32 v[vgprValuC+11], acc65 // copy acc to vreg[65]
v_accvgpr_read_b32 v[vgprValuC+14], acc72 // copy acc to vreg[66]
v_accvgpr_read_b32 v[vgprValuC+15], acc73 // copy acc to vreg[67]
v_accvgpr_read_b32 v[vgprValuC+20], acc66 // copy acc to vreg[68]
v_accvgpr_read_b32 v[vgprValuC+21], acc67 // copy acc to vreg[69]
v_accvgpr_read_b32 v[vgprValuC+24], acc74 // copy acc to vreg[70]
v_accvgpr_read_b32 v[vgprValuC+25], acc75 // copy acc to vreg[71]
s_nop 1                                            // 2 wait states required before reading vgpr

/* rC *= alpha batchElements=[(16, 0, 0, 0), (16, 0, 0, 1), (17, 0, 0, 0), (17, 0, 0, 1)] */
v_mul_f64 v[vgprValuC+10:vgprValuC+10+1], s[sgprAlpha:sgprAlpha+1], v[vgprValuC+10:vgprValuC+10+1] // *= alpha
v_mul_f64 v[vgprValuC+14:vgprValuC+14+1], s[sgprAlpha:sgprAlpha+1], v[vgprValuC+14:vgprValuC+14+1] // *= alpha
v_mul_f64 v[vgprValuC+20:vgprValuC+20+1], s[sgprAlpha:sgprAlpha+1], v[vgprValuC+20:vgprValuC+20+1] // *= alpha
v_mul_f64 v[vgprValuC+24:vgprValuC+24+1], s[sgprAlpha:sgprAlpha+1], v[vgprValuC+24:vgprValuC+24+1] // *= alpha
s_waitcnt vmcnt(0)                                 // wait C

/* apply mask, calc new C and issue writes */
v_fma_f64 v[vgprValuC+10:vgprValuC+10+1], v[8:9], s[sgprBeta:sgprBeta+1], v[vgprValuC+10:vgprValuC+10+1] // finalSum = sum*alpha + C*beta
_buffer_store_b64 v[10:11], v6, s[sgprSrdD:sgprSrdD+3], 0, offen, offset:0,  sc0 sc1 // store D
v_fma_f64 v[vgprValuC+14:vgprValuC+14+1], v[12:13], s[sgprBeta:sgprBeta+1], v[vgprValuC+14:vgprValuC+14+1] // finalSum = sum*alpha + C*beta
_buffer_store_b64 v[14:15], v7, s[sgprSrdD:sgprSrdD+3], 0, offen, offset:0,  sc0 sc1 // store D
v_fma_f64 v[vgprValuC+20:vgprValuC+20+1], v[18:19], s[sgprBeta:sgprBeta+1], v[vgprValuC+20:vgprValuC+20+1] // finalSum = sum*alpha + C*beta
_buffer_store_b64 v[20:21], v16, s[sgprSrdD:sgprSrdD+3], 0, offen, offset:0,  sc0 sc1 // store D
v_fma_f64 v[vgprValuC+24:vgprValuC+24+1], v[22:23], s[sgprBeta:sgprBeta+1], v[vgprValuC+24:vgprValuC+24+1] // finalSum = sum*alpha + C*beta
_buffer_store_b64 v[24:25], v17, s[sgprSrdD:sgprSrdD+3], 0, offen, offset:0,  sc0 sc1 // store D
s_nop 0                                            // 1 wait state required when next inst writes vgprs held by previous dwordx4 store inst
/* optSingleColVgpr=0 optSharedColVgpr=0 optSGPRUsage=BufferLoad_Edge_Mask optSrdIncForRow=0 */

/******************************************/
/* Global Write Alpha Beta Edge Batch #9 (d1,d0,vc1,vc0) = */
/*    (18,0,0,0:vw1); (18,0,0,1:vw1); (19,0,0,0:vw1); (19,0,0,1:vw1) */
/******************************************/

/* calc coords, apply mask, and issue loads (if necessary) */
/* (d1,vc1,d0,vc0)=(18,0,0,0) */
_v_add_co_u32 v1, vcc, v1, 4                       // coord1.1: coord1Vgpr += d1*sg1*VW + vc1

/* Fix for UseInitialStridesCD, emitAddressSetupCode */
s_mul_i32 s54, s[sgprStrideC1J], 4                 // scale stride
_v_add_u32 v2, v2, s54                             // ROWINC- Move cinRowPtr to next row
s_mul_i32 s54, s[sgprStrideD1J], 4                 // scale stride
_v_add_u32 v3, v3, s54                             // Move coutRowPtr to next row
v_cmp_lt_u32 s[54:55], v0, s[sgprSizeI]            // coord0 < size0
v_cmp_lt_u32 s[58:59], v1, s[sgprSizeJ]            // coord1 < size1
s_and_b64 s[58:59], s[54:55], s[58:59]             // in0 && in1
_v_add_lshl_u32 v6, v2, v0, 0x3                    // scaleToBpe: accumulate d0 lower and *= bpe into Cin addr
v_cndmask_b32 v6, -1, v6, s[58:59]                 // LDC clip if OOB. offset
_buffer_load_b64 v[8:9], v6, s[sgprSrdC:sgprSrdC+3], 0, offen offset:0,  sc0 sc1 // load C for beta calc
_v_add_lshl_u32 v6, v3, v0, 0x3                    // scaleToBpe: accumulate d0 lower and *= bpe into Cin addr
v_cndmask_b32 v6, -1, v6, s[58:59]                 // LDD clip if OOB. offset
/* (d1,vc1,d0,vc0)=(18,0,0,1) */
_v_add_co_u32 v4, vcc, v0, 1                       // coord0.1: coord0 += d0*sg0*VW + vc0
v_cmp_lt_u32 s[54:55], v4, s[sgprSizeI]            // coord0 < size0
v_cmp_lt_u32 s[58:59], v1, s[sgprSizeJ]            // coord1 < size1
s_and_b64 s[58:59], s[54:55], s[58:59]             // in0 && in1
_v_add_lshl_u32 v7, v2, v4, 0x3                    // scaleToBpe: accumulate d0 lower and *= bpe into Cin addr
v_cndmask_b32 v7, -1, v7, s[58:59]                 // LDC clip if OOB. offset
_buffer_load_b64 v[12:13], v7, s[sgprSrdC:sgprSrdC+3], 0, offen offset:0,  sc0 sc1 // load C for beta calc
_v_add_lshl_u32 v7, v3, v4, 0x3                    // scaleToBpe: accumulate d0 lower and *= bpe into Cin addr
v_cndmask_b32 v7, -1, v7, s[58:59]                 // LDD clip if OOB. offset
/* (d1,vc1,d0,vc0)=(19,0,0,0) */
_v_add_co_u32 v1, vcc, v1, 4                       // coord1.1: coord1Vgpr += d1*sg1*VW + vc1

/* Fix for UseInitialStridesCD, emitAddressSetupCode */
s_mul_i32 s54, s[sgprStrideC1J], 4                 // scale stride
_v_add_u32 v2, v2, s54                             // ROWINC- Move cinRowPtr to next row
s_mul_i32 s54, s[sgprStrideD1J], 4                 // scale stride
_v_add_u32 v3, v3, s54                             // Move coutRowPtr to next row
v_cmp_lt_u32 s[54:55], v0, s[sgprSizeI]            // coord0 < size0
v_cmp_lt_u32 s[58:59], v1, s[sgprSizeJ]            // coord1 < size1
s_and_b64 s[58:59], s[54:55], s[58:59]             // in0 && in1
_v_add_lshl_u32 v16, v2, v0, 0x3                   // scaleToBpe: accumulate d0 lower and *= bpe into Cin addr
v_cndmask_b32 v16, -1, v16, s[58:59]               // LDC clip if OOB. offset
_buffer_load_b64 v[18:19], v16, s[sgprSrdC:sgprSrdC+3], 0, offen offset:0,  sc0 sc1 // load C for beta calc
_v_add_lshl_u32 v16, v3, v0, 0x3                   // scaleToBpe: accumulate d0 lower and *= bpe into Cin addr
v_cndmask_b32 v16, -1, v16, s[58:59]               // LDD clip if OOB. offset
/* (d1,vc1,d0,vc0)=(19,0,0,1) */
_v_add_co_u32 v4, vcc, v0, 1                       // coord0.1: coord0 += d0*sg0*VW + vc0
v_cmp_lt_u32 s[54:55], v4, s[sgprSizeI]            // coord0 < size0
v_cmp_lt_u32 s[58:59], v1, s[sgprSizeJ]            // coord1 < size1
s_and_b64 s[58:59], s[54:55], s[58:59]             // in0 && in1
_v_add_lshl_u32 v17, v2, v4, 0x3                   // scaleToBpe: accumulate d0 lower and *= bpe into Cin addr
v_cndmask_b32 v17, -1, v17, s[58:59]               // LDC clip if OOB. offset
_buffer_load_b64 v[22:23], v17, s[sgprSrdC:sgprSrdC+3], 0, offen offset:0,  sc0 sc1 // load C for beta calc
_v_add_lshl_u32 v17, v3, v4, 0x3                   // scaleToBpe: accumulate d0 lower and *= bpe into Cin addr
v_cndmask_b32 v17, -1, v17, s[58:59]               // LDD clip if OOB. offset
v_accvgpr_read_b32 v[vgprValuC+10], acc68 // copy acc to vreg[72]
v_accvgpr_read_b32 v[vgprValuC+11], acc69 // copy acc to vreg[73]
v_accvgpr_read_b32 v[vgprValuC+14], acc76 // copy acc to vreg[74]
v_accvgpr_read_b32 v[vgprValuC+15], acc77 // copy acc to vreg[75]
v_accvgpr_read_b32 v[vgprValuC+20], acc70 // copy acc to vreg[76]
v_accvgpr_read_b32 v[vgprValuC+21], acc71 // copy acc to vreg[77]
v_accvgpr_read_b32 v[vgprValuC+24], acc78 // copy acc to vreg[78]
v_accvgpr_read_b32 v[vgprValuC+25], acc79 // copy acc to vreg[79]
s_nop 1                                            // 2 wait states required before reading vgpr

/* rC *= alpha batchElements=[(18, 0, 0, 0), (18, 0, 0, 1), (19, 0, 0, 0), (19, 0, 0, 1)] */
v_mul_f64 v[vgprValuC+10:vgprValuC+10+1], s[sgprAlpha:sgprAlpha+1], v[vgprValuC+10:vgprValuC+10+1] // *= alpha
v_mul_f64 v[vgprValuC+14:vgprValuC+14+1], s[sgprAlpha:sgprAlpha+1], v[vgprValuC+14:vgprValuC+14+1] // *= alpha
	;; [unrolled: 1-line block ×4, first 2 shown]
s_waitcnt vmcnt(0)                                 // wait C

/* apply mask, calc new C and issue writes */
v_fma_f64 v[vgprValuC+10:vgprValuC+10+1], v[8:9], s[sgprBeta:sgprBeta+1], v[vgprValuC+10:vgprValuC+10+1] // finalSum = sum*alpha + C*beta
_buffer_store_b64 v[10:11], v6, s[sgprSrdD:sgprSrdD+3], 0, offen, offset:0,  sc0 sc1 // store D
v_fma_f64 v[vgprValuC+14:vgprValuC+14+1], v[12:13], s[sgprBeta:sgprBeta+1], v[vgprValuC+14:vgprValuC+14+1] // finalSum = sum*alpha + C*beta
_buffer_store_b64 v[14:15], v7, s[sgprSrdD:sgprSrdD+3], 0, offen, offset:0,  sc0 sc1 // store D
	;; [unrolled: 2-line block ×4, first 2 shown]
s_nop 0                                            // 1 wait state required when next inst writes vgprs held by previous dwordx4 store inst
/* optSingleColVgpr=0 optSharedColVgpr=0 optSGPRUsage=BufferLoad_Edge_Mask optSrdIncForRow=0 */

/******************************************/
/* Global Write Alpha Beta Edge Batch #10 (d1,d0,vc1,vc0) = */
/*    (20,0,0,0:vw1); (20,0,0,1:vw1); (21,0,0,0:vw1); (21,0,0,1:vw1) */
/******************************************/

/* calc coords, apply mask, and issue loads (if necessary) */
/* (d1,vc1,d0,vc0)=(20,0,0,0) */
_v_add_co_u32 v1, vcc, v1, 4                       // coord1.1: coord1Vgpr += d1*sg1*VW + vc1

/* Fix for UseInitialStridesCD, emitAddressSetupCode */
s_mul_i32 s54, s[sgprStrideC1J], 4                 // scale stride
_v_add_u32 v2, v2, s54                             // ROWINC- Move cinRowPtr to next row
s_mul_i32 s54, s[sgprStrideD1J], 4                 // scale stride
_v_add_u32 v3, v3, s54                             // Move coutRowPtr to next row
v_cmp_lt_u32 s[54:55], v0, s[sgprSizeI]            // coord0 < size0
v_cmp_lt_u32 s[58:59], v1, s[sgprSizeJ]            // coord1 < size1
s_and_b64 s[58:59], s[54:55], s[58:59]             // in0 && in1
_v_add_lshl_u32 v6, v2, v0, 0x3                    // scaleToBpe: accumulate d0 lower and *= bpe into Cin addr
v_cndmask_b32 v6, -1, v6, s[58:59]                 // LDC clip if OOB. offset
_buffer_load_b64 v[8:9], v6, s[sgprSrdC:sgprSrdC+3], 0, offen offset:0,  sc0 sc1 // load C for beta calc
_v_add_lshl_u32 v6, v3, v0, 0x3                    // scaleToBpe: accumulate d0 lower and *= bpe into Cin addr
v_cndmask_b32 v6, -1, v6, s[58:59]                 // LDD clip if OOB. offset
/* (d1,vc1,d0,vc0)=(20,0,0,1) */
_v_add_co_u32 v4, vcc, v0, 1                       // coord0.1: coord0 += d0*sg0*VW + vc0
v_cmp_lt_u32 s[54:55], v4, s[sgprSizeI]            // coord0 < size0
v_cmp_lt_u32 s[58:59], v1, s[sgprSizeJ]            // coord1 < size1
s_and_b64 s[58:59], s[54:55], s[58:59]             // in0 && in1
_v_add_lshl_u32 v7, v2, v4, 0x3                    // scaleToBpe: accumulate d0 lower and *= bpe into Cin addr
v_cndmask_b32 v7, -1, v7, s[58:59]                 // LDC clip if OOB. offset
_buffer_load_b64 v[12:13], v7, s[sgprSrdC:sgprSrdC+3], 0, offen offset:0,  sc0 sc1 // load C for beta calc
_v_add_lshl_u32 v7, v3, v4, 0x3                    // scaleToBpe: accumulate d0 lower and *= bpe into Cin addr
v_cndmask_b32 v7, -1, v7, s[58:59]                 // LDD clip if OOB. offset
/* (d1,vc1,d0,vc0)=(21,0,0,0) */
_v_add_co_u32 v1, vcc, v1, 4                       // coord1.1: coord1Vgpr += d1*sg1*VW + vc1

/* Fix for UseInitialStridesCD, emitAddressSetupCode */
s_mul_i32 s54, s[sgprStrideC1J], 4                 // scale stride
_v_add_u32 v2, v2, s54                             // ROWINC- Move cinRowPtr to next row
s_mul_i32 s54, s[sgprStrideD1J], 4                 // scale stride
_v_add_u32 v3, v3, s54                             // Move coutRowPtr to next row
v_cmp_lt_u32 s[54:55], v0, s[sgprSizeI]            // coord0 < size0
v_cmp_lt_u32 s[58:59], v1, s[sgprSizeJ]            // coord1 < size1
s_and_b64 s[58:59], s[54:55], s[58:59]             // in0 && in1
_v_add_lshl_u32 v16, v2, v0, 0x3                   // scaleToBpe: accumulate d0 lower and *= bpe into Cin addr
v_cndmask_b32 v16, -1, v16, s[58:59]               // LDC clip if OOB. offset
_buffer_load_b64 v[18:19], v16, s[sgprSrdC:sgprSrdC+3], 0, offen offset:0,  sc0 sc1 // load C for beta calc
_v_add_lshl_u32 v16, v3, v0, 0x3                   // scaleToBpe: accumulate d0 lower and *= bpe into Cin addr
v_cndmask_b32 v16, -1, v16, s[58:59]               // LDD clip if OOB. offset
/* (d1,vc1,d0,vc0)=(21,0,0,1) */
_v_add_co_u32 v4, vcc, v0, 1                       // coord0.1: coord0 += d0*sg0*VW + vc0
v_cmp_lt_u32 s[54:55], v4, s[sgprSizeI]            // coord0 < size0
v_cmp_lt_u32 s[58:59], v1, s[sgprSizeJ]            // coord1 < size1
s_and_b64 s[58:59], s[54:55], s[58:59]             // in0 && in1
_v_add_lshl_u32 v17, v2, v4, 0x3                   // scaleToBpe: accumulate d0 lower and *= bpe into Cin addr
v_cndmask_b32 v17, -1, v17, s[58:59]               // LDC clip if OOB. offset
_buffer_load_b64 v[22:23], v17, s[sgprSrdC:sgprSrdC+3], 0, offen offset:0,  sc0 sc1 // load C for beta calc
_v_add_lshl_u32 v17, v3, v4, 0x3                   // scaleToBpe: accumulate d0 lower and *= bpe into Cin addr
v_cndmask_b32 v17, -1, v17, s[58:59]               // LDD clip if OOB. offset
v_accvgpr_read_b32 v[vgprValuC+10], acc80 // copy acc to vreg[80]
v_accvgpr_read_b32 v[vgprValuC+11], acc81 // copy acc to vreg[81]
v_accvgpr_read_b32 v[vgprValuC+14], acc88 // copy acc to vreg[82]
v_accvgpr_read_b32 v[vgprValuC+15], acc89 // copy acc to vreg[83]
v_accvgpr_read_b32 v[vgprValuC+20], acc82 // copy acc to vreg[84]
v_accvgpr_read_b32 v[vgprValuC+21], acc83 // copy acc to vreg[85]
v_accvgpr_read_b32 v[vgprValuC+24], acc90 // copy acc to vreg[86]
v_accvgpr_read_b32 v[vgprValuC+25], acc91 // copy acc to vreg[87]
s_nop 1                                            // 2 wait states required before reading vgpr

/* rC *= alpha batchElements=[(20, 0, 0, 0), (20, 0, 0, 1), (21, 0, 0, 0), (21, 0, 0, 1)] */
v_mul_f64 v[vgprValuC+10:vgprValuC+10+1], s[sgprAlpha:sgprAlpha+1], v[vgprValuC+10:vgprValuC+10+1] // *= alpha
v_mul_f64 v[vgprValuC+14:vgprValuC+14+1], s[sgprAlpha:sgprAlpha+1], v[vgprValuC+14:vgprValuC+14+1] // *= alpha
	;; [unrolled: 1-line block ×4, first 2 shown]
s_waitcnt vmcnt(0)                                 // wait C

/* apply mask, calc new C and issue writes */
v_fma_f64 v[vgprValuC+10:vgprValuC+10+1], v[8:9], s[sgprBeta:sgprBeta+1], v[vgprValuC+10:vgprValuC+10+1] // finalSum = sum*alpha + C*beta
_buffer_store_b64 v[10:11], v6, s[sgprSrdD:sgprSrdD+3], 0, offen, offset:0,  sc0 sc1 // store D
v_fma_f64 v[vgprValuC+14:vgprValuC+14+1], v[12:13], s[sgprBeta:sgprBeta+1], v[vgprValuC+14:vgprValuC+14+1] // finalSum = sum*alpha + C*beta
_buffer_store_b64 v[14:15], v7, s[sgprSrdD:sgprSrdD+3], 0, offen, offset:0,  sc0 sc1 // store D
	;; [unrolled: 2-line block ×4, first 2 shown]
s_nop 0                                            // 1 wait state required when next inst writes vgprs held by previous dwordx4 store inst
/* optSingleColVgpr=0 optSharedColVgpr=0 optSGPRUsage=BufferLoad_Edge_Mask optSrdIncForRow=0 */

/******************************************/
/* Global Write Alpha Beta Edge Batch #11 (d1,d0,vc1,vc0) = */
/*    (22,0,0,0:vw1); (22,0,0,1:vw1); (23,0,0,0:vw1); (23,0,0,1:vw1) */
/******************************************/

/* calc coords, apply mask, and issue loads (if necessary) */
/* (d1,vc1,d0,vc0)=(22,0,0,0) */
_v_add_co_u32 v1, vcc, v1, 4                       // coord1.1: coord1Vgpr += d1*sg1*VW + vc1

/* Fix for UseInitialStridesCD, emitAddressSetupCode */
s_mul_i32 s54, s[sgprStrideC1J], 4                 // scale stride
_v_add_u32 v2, v2, s54                             // ROWINC- Move cinRowPtr to next row
s_mul_i32 s54, s[sgprStrideD1J], 4                 // scale stride
_v_add_u32 v3, v3, s54                             // Move coutRowPtr to next row
v_cmp_lt_u32 s[54:55], v0, s[sgprSizeI]            // coord0 < size0
v_cmp_lt_u32 s[58:59], v1, s[sgprSizeJ]            // coord1 < size1
s_and_b64 s[58:59], s[54:55], s[58:59]             // in0 && in1
_v_add_lshl_u32 v6, v2, v0, 0x3                    // scaleToBpe: accumulate d0 lower and *= bpe into Cin addr
v_cndmask_b32 v6, -1, v6, s[58:59]                 // LDC clip if OOB. offset
_buffer_load_b64 v[8:9], v6, s[sgprSrdC:sgprSrdC+3], 0, offen offset:0,  sc0 sc1 // load C for beta calc
_v_add_lshl_u32 v6, v3, v0, 0x3                    // scaleToBpe: accumulate d0 lower and *= bpe into Cin addr
v_cndmask_b32 v6, -1, v6, s[58:59]                 // LDD clip if OOB. offset
/* (d1,vc1,d0,vc0)=(22,0,0,1) */
_v_add_co_u32 v4, vcc, v0, 1                       // coord0.1: coord0 += d0*sg0*VW + vc0
v_cmp_lt_u32 s[54:55], v4, s[sgprSizeI]            // coord0 < size0
v_cmp_lt_u32 s[58:59], v1, s[sgprSizeJ]            // coord1 < size1
s_and_b64 s[58:59], s[54:55], s[58:59]             // in0 && in1
_v_add_lshl_u32 v7, v2, v4, 0x3                    // scaleToBpe: accumulate d0 lower and *= bpe into Cin addr
v_cndmask_b32 v7, -1, v7, s[58:59]                 // LDC clip if OOB. offset
_buffer_load_b64 v[12:13], v7, s[sgprSrdC:sgprSrdC+3], 0, offen offset:0,  sc0 sc1 // load C for beta calc
_v_add_lshl_u32 v7, v3, v4, 0x3                    // scaleToBpe: accumulate d0 lower and *= bpe into Cin addr
v_cndmask_b32 v7, -1, v7, s[58:59]                 // LDD clip if OOB. offset
/* (d1,vc1,d0,vc0)=(23,0,0,0) */
_v_add_co_u32 v1, vcc, v1, 4                       // coord1.1: coord1Vgpr += d1*sg1*VW + vc1

/* Fix for UseInitialStridesCD, emitAddressSetupCode */
s_mul_i32 s54, s[sgprStrideC1J], 4                 // scale stride
_v_add_u32 v2, v2, s54                             // ROWINC- Move cinRowPtr to next row
s_mul_i32 s54, s[sgprStrideD1J], 4                 // scale stride
_v_add_u32 v3, v3, s54                             // Move coutRowPtr to next row
v_cmp_lt_u32 s[54:55], v0, s[sgprSizeI]            // coord0 < size0
v_cmp_lt_u32 s[58:59], v1, s[sgprSizeJ]            // coord1 < size1
s_and_b64 s[58:59], s[54:55], s[58:59]             // in0 && in1
_v_add_lshl_u32 v16, v2, v0, 0x3                   // scaleToBpe: accumulate d0 lower and *= bpe into Cin addr
v_cndmask_b32 v16, -1, v16, s[58:59]               // LDC clip if OOB. offset
_buffer_load_b64 v[18:19], v16, s[sgprSrdC:sgprSrdC+3], 0, offen offset:0,  sc0 sc1 // load C for beta calc
_v_add_lshl_u32 v16, v3, v0, 0x3                   // scaleToBpe: accumulate d0 lower and *= bpe into Cin addr
v_cndmask_b32 v16, -1, v16, s[58:59]               // LDD clip if OOB. offset
/* (d1,vc1,d0,vc0)=(23,0,0,1) */
_v_add_co_u32 v4, vcc, v0, 1                       // coord0.1: coord0 += d0*sg0*VW + vc0
v_cmp_lt_u32 s[54:55], v4, s[sgprSizeI]            // coord0 < size0
v_cmp_lt_u32 s[58:59], v1, s[sgprSizeJ]            // coord1 < size1
s_and_b64 s[58:59], s[54:55], s[58:59]             // in0 && in1
_v_add_lshl_u32 v17, v2, v4, 0x3                   // scaleToBpe: accumulate d0 lower and *= bpe into Cin addr
v_cndmask_b32 v17, -1, v17, s[58:59]               // LDC clip if OOB. offset
_buffer_load_b64 v[22:23], v17, s[sgprSrdC:sgprSrdC+3], 0, offen offset:0,  sc0 sc1 // load C for beta calc
_v_add_lshl_u32 v17, v3, v4, 0x3                   // scaleToBpe: accumulate d0 lower and *= bpe into Cin addr
v_cndmask_b32 v17, -1, v17, s[58:59]               // LDD clip if OOB. offset
v_accvgpr_read_b32 v[vgprValuC+10], acc84 // copy acc to vreg[88]
v_accvgpr_read_b32 v[vgprValuC+11], acc85 // copy acc to vreg[89]
v_accvgpr_read_b32 v[vgprValuC+14], acc92 // copy acc to vreg[90]
v_accvgpr_read_b32 v[vgprValuC+15], acc93 // copy acc to vreg[91]
v_accvgpr_read_b32 v[vgprValuC+20], acc86 // copy acc to vreg[92]
v_accvgpr_read_b32 v[vgprValuC+21], acc87 // copy acc to vreg[93]
v_accvgpr_read_b32 v[vgprValuC+24], acc94 // copy acc to vreg[94]
v_accvgpr_read_b32 v[vgprValuC+25], acc95 // copy acc to vreg[95]
s_nop 1                                            // 2 wait states required before reading vgpr

/* rC *= alpha batchElements=[(22, 0, 0, 0), (22, 0, 0, 1), (23, 0, 0, 0), (23, 0, 0, 1)] */
v_mul_f64 v[vgprValuC+10:vgprValuC+10+1], s[sgprAlpha:sgprAlpha+1], v[vgprValuC+10:vgprValuC+10+1] // *= alpha
v_mul_f64 v[vgprValuC+14:vgprValuC+14+1], s[sgprAlpha:sgprAlpha+1], v[vgprValuC+14:vgprValuC+14+1] // *= alpha
	;; [unrolled: 1-line block ×4, first 2 shown]
s_waitcnt vmcnt(0)                                 // wait C

/* apply mask, calc new C and issue writes */
v_fma_f64 v[vgprValuC+10:vgprValuC+10+1], v[8:9], s[sgprBeta:sgprBeta+1], v[vgprValuC+10:vgprValuC+10+1] // finalSum = sum*alpha + C*beta
_buffer_store_b64 v[10:11], v6, s[sgprSrdD:sgprSrdD+3], 0, offen, offset:0,  sc0 sc1 // store D
v_fma_f64 v[vgprValuC+14:vgprValuC+14+1], v[12:13], s[sgprBeta:sgprBeta+1], v[vgprValuC+14:vgprValuC+14+1] // finalSum = sum*alpha + C*beta
_buffer_store_b64 v[14:15], v7, s[sgprSrdD:sgprSrdD+3], 0, offen, offset:0,  sc0 sc1 // store D
	;; [unrolled: 2-line block ×4, first 2 shown]
s_nop 0                                            // 1 wait state required when next inst writes vgprs held by previous dwordx4 store inst
/* optSingleColVgpr=0 optSharedColVgpr=0 optSGPRUsage=BufferLoad_Edge_Mask optSrdIncForRow=0 */

/******************************************/
/* Global Write Alpha Beta Edge Batch #12 (d1,d0,vc1,vc0) = */
/*    (24,0,0,0:vw1); (24,0,0,1:vw1); (25,0,0,0:vw1); (25,0,0,1:vw1) */
/******************************************/

/* calc coords, apply mask, and issue loads (if necessary) */
/* (d1,vc1,d0,vc0)=(24,0,0,0) */
_v_add_co_u32 v1, vcc, v1, 4                       // coord1.1: coord1Vgpr += d1*sg1*VW + vc1

/* Fix for UseInitialStridesCD, emitAddressSetupCode */
s_mul_i32 s54, s[sgprStrideC1J], 4                 // scale stride
_v_add_u32 v2, v2, s54                             // ROWINC- Move cinRowPtr to next row
s_mul_i32 s54, s[sgprStrideD1J], 4                 // scale stride
_v_add_u32 v3, v3, s54                             // Move coutRowPtr to next row
v_cmp_lt_u32 s[54:55], v0, s[sgprSizeI]            // coord0 < size0
v_cmp_lt_u32 s[58:59], v1, s[sgprSizeJ]            // coord1 < size1
s_and_b64 s[58:59], s[54:55], s[58:59]             // in0 && in1
_v_add_lshl_u32 v6, v2, v0, 0x3                    // scaleToBpe: accumulate d0 lower and *= bpe into Cin addr
v_cndmask_b32 v6, -1, v6, s[58:59]                 // LDC clip if OOB. offset
_buffer_load_b64 v[8:9], v6, s[sgprSrdC:sgprSrdC+3], 0, offen offset:0,  sc0 sc1 // load C for beta calc
_v_add_lshl_u32 v6, v3, v0, 0x3                    // scaleToBpe: accumulate d0 lower and *= bpe into Cin addr
v_cndmask_b32 v6, -1, v6, s[58:59]                 // LDD clip if OOB. offset
/* (d1,vc1,d0,vc0)=(24,0,0,1) */
_v_add_co_u32 v4, vcc, v0, 1                       // coord0.1: coord0 += d0*sg0*VW + vc0
v_cmp_lt_u32 s[54:55], v4, s[sgprSizeI]            // coord0 < size0
v_cmp_lt_u32 s[58:59], v1, s[sgprSizeJ]            // coord1 < size1
s_and_b64 s[58:59], s[54:55], s[58:59]             // in0 && in1
_v_add_lshl_u32 v7, v2, v4, 0x3                    // scaleToBpe: accumulate d0 lower and *= bpe into Cin addr
v_cndmask_b32 v7, -1, v7, s[58:59]                 // LDC clip if OOB. offset
_buffer_load_b64 v[12:13], v7, s[sgprSrdC:sgprSrdC+3], 0, offen offset:0,  sc0 sc1 // load C for beta calc
_v_add_lshl_u32 v7, v3, v4, 0x3                    // scaleToBpe: accumulate d0 lower and *= bpe into Cin addr
v_cndmask_b32 v7, -1, v7, s[58:59]                 // LDD clip if OOB. offset
/* (d1,vc1,d0,vc0)=(25,0,0,0) */
_v_add_co_u32 v1, vcc, v1, 4                       // coord1.1: coord1Vgpr += d1*sg1*VW + vc1

/* Fix for UseInitialStridesCD, emitAddressSetupCode */
s_mul_i32 s54, s[sgprStrideC1J], 4                 // scale stride
_v_add_u32 v2, v2, s54                             // ROWINC- Move cinRowPtr to next row
s_mul_i32 s54, s[sgprStrideD1J], 4                 // scale stride
_v_add_u32 v3, v3, s54                             // Move coutRowPtr to next row
v_cmp_lt_u32 s[54:55], v0, s[sgprSizeI]            // coord0 < size0
v_cmp_lt_u32 s[58:59], v1, s[sgprSizeJ]            // coord1 < size1
s_and_b64 s[58:59], s[54:55], s[58:59]             // in0 && in1
_v_add_lshl_u32 v16, v2, v0, 0x3                   // scaleToBpe: accumulate d0 lower and *= bpe into Cin addr
v_cndmask_b32 v16, -1, v16, s[58:59]               // LDC clip if OOB. offset
_buffer_load_b64 v[18:19], v16, s[sgprSrdC:sgprSrdC+3], 0, offen offset:0,  sc0 sc1 // load C for beta calc
_v_add_lshl_u32 v16, v3, v0, 0x3                   // scaleToBpe: accumulate d0 lower and *= bpe into Cin addr
v_cndmask_b32 v16, -1, v16, s[58:59]               // LDD clip if OOB. offset
/* (d1,vc1,d0,vc0)=(25,0,0,1) */
_v_add_co_u32 v4, vcc, v0, 1                       // coord0.1: coord0 += d0*sg0*VW + vc0
v_cmp_lt_u32 s[54:55], v4, s[sgprSizeI]            // coord0 < size0
v_cmp_lt_u32 s[58:59], v1, s[sgprSizeJ]            // coord1 < size1
s_and_b64 s[58:59], s[54:55], s[58:59]             // in0 && in1
_v_add_lshl_u32 v17, v2, v4, 0x3                   // scaleToBpe: accumulate d0 lower and *= bpe into Cin addr
v_cndmask_b32 v17, -1, v17, s[58:59]               // LDC clip if OOB. offset
_buffer_load_b64 v[22:23], v17, s[sgprSrdC:sgprSrdC+3], 0, offen offset:0,  sc0 sc1 // load C for beta calc
_v_add_lshl_u32 v17, v3, v4, 0x3                   // scaleToBpe: accumulate d0 lower and *= bpe into Cin addr
v_cndmask_b32 v17, -1, v17, s[58:59]               // LDD clip if OOB. offset
v_accvgpr_read_b32 v[vgprValuC+10], acc96 // copy acc to vreg[96]
v_accvgpr_read_b32 v[vgprValuC+11], acc97 // copy acc to vreg[97]
v_accvgpr_read_b32 v[vgprValuC+14], acc104 // copy acc to vreg[98]
v_accvgpr_read_b32 v[vgprValuC+15], acc105 // copy acc to vreg[99]
v_accvgpr_read_b32 v[vgprValuC+20], acc98 // copy acc to vreg[100]
v_accvgpr_read_b32 v[vgprValuC+21], acc99 // copy acc to vreg[101]
v_accvgpr_read_b32 v[vgprValuC+24], acc106 // copy acc to vreg[102]
v_accvgpr_read_b32 v[vgprValuC+25], acc107 // copy acc to vreg[103]
s_nop 1                                            // 2 wait states required before reading vgpr

/* rC *= alpha batchElements=[(24, 0, 0, 0), (24, 0, 0, 1), (25, 0, 0, 0), (25, 0, 0, 1)] */
v_mul_f64 v[vgprValuC+10:vgprValuC+10+1], s[sgprAlpha:sgprAlpha+1], v[vgprValuC+10:vgprValuC+10+1] // *= alpha
v_mul_f64 v[vgprValuC+14:vgprValuC+14+1], s[sgprAlpha:sgprAlpha+1], v[vgprValuC+14:vgprValuC+14+1] // *= alpha
	;; [unrolled: 1-line block ×4, first 2 shown]
s_waitcnt vmcnt(0)                                 // wait C

/* apply mask, calc new C and issue writes */
v_fma_f64 v[vgprValuC+10:vgprValuC+10+1], v[8:9], s[sgprBeta:sgprBeta+1], v[vgprValuC+10:vgprValuC+10+1] // finalSum = sum*alpha + C*beta
_buffer_store_b64 v[10:11], v6, s[sgprSrdD:sgprSrdD+3], 0, offen, offset:0,  sc0 sc1 // store D
v_fma_f64 v[vgprValuC+14:vgprValuC+14+1], v[12:13], s[sgprBeta:sgprBeta+1], v[vgprValuC+14:vgprValuC+14+1] // finalSum = sum*alpha + C*beta
_buffer_store_b64 v[14:15], v7, s[sgprSrdD:sgprSrdD+3], 0, offen, offset:0,  sc0 sc1 // store D
	;; [unrolled: 2-line block ×4, first 2 shown]
s_nop 0                                            // 1 wait state required when next inst writes vgprs held by previous dwordx4 store inst
/* optSingleColVgpr=0 optSharedColVgpr=0 optSGPRUsage=BufferLoad_Edge_Mask optSrdIncForRow=0 */

/******************************************/
/* Global Write Alpha Beta Edge Batch #13 (d1,d0,vc1,vc0) = */
/*    (26,0,0,0:vw1); (26,0,0,1:vw1); (27,0,0,0:vw1); (27,0,0,1:vw1) */
/******************************************/

/* calc coords, apply mask, and issue loads (if necessary) */
/* (d1,vc1,d0,vc0)=(26,0,0,0) */
_v_add_co_u32 v1, vcc, v1, 4                       // coord1.1: coord1Vgpr += d1*sg1*VW + vc1

/* Fix for UseInitialStridesCD, emitAddressSetupCode */
s_mul_i32 s54, s[sgprStrideC1J], 4                 // scale stride
_v_add_u32 v2, v2, s54                             // ROWINC- Move cinRowPtr to next row
s_mul_i32 s54, s[sgprStrideD1J], 4                 // scale stride
_v_add_u32 v3, v3, s54                             // Move coutRowPtr to next row
v_cmp_lt_u32 s[54:55], v0, s[sgprSizeI]            // coord0 < size0
v_cmp_lt_u32 s[58:59], v1, s[sgprSizeJ]            // coord1 < size1
s_and_b64 s[58:59], s[54:55], s[58:59]             // in0 && in1
_v_add_lshl_u32 v6, v2, v0, 0x3                    // scaleToBpe: accumulate d0 lower and *= bpe into Cin addr
v_cndmask_b32 v6, -1, v6, s[58:59]                 // LDC clip if OOB. offset
_buffer_load_b64 v[8:9], v6, s[sgprSrdC:sgprSrdC+3], 0, offen offset:0,  sc0 sc1 // load C for beta calc
_v_add_lshl_u32 v6, v3, v0, 0x3                    // scaleToBpe: accumulate d0 lower and *= bpe into Cin addr
v_cndmask_b32 v6, -1, v6, s[58:59]                 // LDD clip if OOB. offset
/* (d1,vc1,d0,vc0)=(26,0,0,1) */
_v_add_co_u32 v4, vcc, v0, 1                       // coord0.1: coord0 += d0*sg0*VW + vc0
v_cmp_lt_u32 s[54:55], v4, s[sgprSizeI]            // coord0 < size0
v_cmp_lt_u32 s[58:59], v1, s[sgprSizeJ]            // coord1 < size1
s_and_b64 s[58:59], s[54:55], s[58:59]             // in0 && in1
_v_add_lshl_u32 v7, v2, v4, 0x3                    // scaleToBpe: accumulate d0 lower and *= bpe into Cin addr
v_cndmask_b32 v7, -1, v7, s[58:59]                 // LDC clip if OOB. offset
_buffer_load_b64 v[12:13], v7, s[sgprSrdC:sgprSrdC+3], 0, offen offset:0,  sc0 sc1 // load C for beta calc
_v_add_lshl_u32 v7, v3, v4, 0x3                    // scaleToBpe: accumulate d0 lower and *= bpe into Cin addr
v_cndmask_b32 v7, -1, v7, s[58:59]                 // LDD clip if OOB. offset
/* (d1,vc1,d0,vc0)=(27,0,0,0) */
_v_add_co_u32 v1, vcc, v1, 4                       // coord1.1: coord1Vgpr += d1*sg1*VW + vc1

/* Fix for UseInitialStridesCD, emitAddressSetupCode */
s_mul_i32 s54, s[sgprStrideC1J], 4                 // scale stride
_v_add_u32 v2, v2, s54                             // ROWINC- Move cinRowPtr to next row
s_mul_i32 s54, s[sgprStrideD1J], 4                 // scale stride
_v_add_u32 v3, v3, s54                             // Move coutRowPtr to next row
v_cmp_lt_u32 s[54:55], v0, s[sgprSizeI]            // coord0 < size0
v_cmp_lt_u32 s[58:59], v1, s[sgprSizeJ]            // coord1 < size1
s_and_b64 s[58:59], s[54:55], s[58:59]             // in0 && in1
_v_add_lshl_u32 v16, v2, v0, 0x3                   // scaleToBpe: accumulate d0 lower and *= bpe into Cin addr
v_cndmask_b32 v16, -1, v16, s[58:59]               // LDC clip if OOB. offset
_buffer_load_b64 v[18:19], v16, s[sgprSrdC:sgprSrdC+3], 0, offen offset:0,  sc0 sc1 // load C for beta calc
_v_add_lshl_u32 v16, v3, v0, 0x3                   // scaleToBpe: accumulate d0 lower and *= bpe into Cin addr
v_cndmask_b32 v16, -1, v16, s[58:59]               // LDD clip if OOB. offset
/* (d1,vc1,d0,vc0)=(27,0,0,1) */
_v_add_co_u32 v4, vcc, v0, 1                       // coord0.1: coord0 += d0*sg0*VW + vc0
v_cmp_lt_u32 s[54:55], v4, s[sgprSizeI]            // coord0 < size0
v_cmp_lt_u32 s[58:59], v1, s[sgprSizeJ]            // coord1 < size1
s_and_b64 s[58:59], s[54:55], s[58:59]             // in0 && in1
_v_add_lshl_u32 v17, v2, v4, 0x3                   // scaleToBpe: accumulate d0 lower and *= bpe into Cin addr
v_cndmask_b32 v17, -1, v17, s[58:59]               // LDC clip if OOB. offset
_buffer_load_b64 v[22:23], v17, s[sgprSrdC:sgprSrdC+3], 0, offen offset:0,  sc0 sc1 // load C for beta calc
_v_add_lshl_u32 v17, v3, v4, 0x3                   // scaleToBpe: accumulate d0 lower and *= bpe into Cin addr
v_cndmask_b32 v17, -1, v17, s[58:59]               // LDD clip if OOB. offset
v_accvgpr_read_b32 v[vgprValuC+10], acc100 // copy acc to vreg[104]
v_accvgpr_read_b32 v[vgprValuC+11], acc101 // copy acc to vreg[105]
v_accvgpr_read_b32 v[vgprValuC+14], acc108 // copy acc to vreg[106]
v_accvgpr_read_b32 v[vgprValuC+15], acc109 // copy acc to vreg[107]
v_accvgpr_read_b32 v[vgprValuC+20], acc102 // copy acc to vreg[108]
v_accvgpr_read_b32 v[vgprValuC+21], acc103 // copy acc to vreg[109]
v_accvgpr_read_b32 v[vgprValuC+24], acc110 // copy acc to vreg[110]
v_accvgpr_read_b32 v[vgprValuC+25], acc111 // copy acc to vreg[111]
s_nop 1                                            // 2 wait states required before reading vgpr

/* rC *= alpha batchElements=[(26, 0, 0, 0), (26, 0, 0, 1), (27, 0, 0, 0), (27, 0, 0, 1)] */
v_mul_f64 v[vgprValuC+10:vgprValuC+10+1], s[sgprAlpha:sgprAlpha+1], v[vgprValuC+10:vgprValuC+10+1] // *= alpha
v_mul_f64 v[vgprValuC+14:vgprValuC+14+1], s[sgprAlpha:sgprAlpha+1], v[vgprValuC+14:vgprValuC+14+1] // *= alpha
	;; [unrolled: 1-line block ×4, first 2 shown]
s_waitcnt vmcnt(0)                                 // wait C

/* apply mask, calc new C and issue writes */
v_fma_f64 v[vgprValuC+10:vgprValuC+10+1], v[8:9], s[sgprBeta:sgprBeta+1], v[vgprValuC+10:vgprValuC+10+1] // finalSum = sum*alpha + C*beta
_buffer_store_b64 v[10:11], v6, s[sgprSrdD:sgprSrdD+3], 0, offen, offset:0,  sc0 sc1 // store D
v_fma_f64 v[vgprValuC+14:vgprValuC+14+1], v[12:13], s[sgprBeta:sgprBeta+1], v[vgprValuC+14:vgprValuC+14+1] // finalSum = sum*alpha + C*beta
_buffer_store_b64 v[14:15], v7, s[sgprSrdD:sgprSrdD+3], 0, offen, offset:0,  sc0 sc1 // store D
v_fma_f64 v[vgprValuC+20:vgprValuC+20+1], v[18:19], s[sgprBeta:sgprBeta+1], v[vgprValuC+20:vgprValuC+20+1] // finalSum = sum*alpha + C*beta
_buffer_store_b64 v[20:21], v16, s[sgprSrdD:sgprSrdD+3], 0, offen, offset:0,  sc0 sc1 // store D
v_fma_f64 v[vgprValuC+24:vgprValuC+24+1], v[22:23], s[sgprBeta:sgprBeta+1], v[vgprValuC+24:vgprValuC+24+1] // finalSum = sum*alpha + C*beta
_buffer_store_b64 v[24:25], v17, s[sgprSrdD:sgprSrdD+3], 0, offen, offset:0,  sc0 sc1 // store D
s_nop 0                                            // 1 wait state required when next inst writes vgprs held by previous dwordx4 store inst
s_branch label_GW_End_44                           // jump to end
label_GW_End_44:

label_0049:  /// KernelEnd
s_endpgm                                           // Kernel End

